;; amdgpu-corpus repo=ROCm/rocFFT kind=compiled arch=gfx1030 opt=O3
	.text
	.amdgcn_target "amdgcn-amd-amdhsa--gfx1030"
	.amdhsa_code_object_version 6
	.protected	bluestein_single_back_len1600_dim1_dp_op_CI_CI ; -- Begin function bluestein_single_back_len1600_dim1_dp_op_CI_CI
	.globl	bluestein_single_back_len1600_dim1_dp_op_CI_CI
	.p2align	8
	.type	bluestein_single_back_len1600_dim1_dp_op_CI_CI,@function
bluestein_single_back_len1600_dim1_dp_op_CI_CI: ; @bluestein_single_back_len1600_dim1_dp_op_CI_CI
; %bb.0:
	s_load_dwordx4 s[8:11], s[4:5], 0x28
	v_mul_u32_u24_e32 v1, 0x290, v0
	s_mov_b64 s[26:27], s[2:3]
	s_mov_b64 s[24:25], s[0:1]
	v_mov_b32_e32 v11, 0
	s_add_u32 s24, s24, s7
	v_lshrrev_b32_e32 v3, 16, v1
	s_addc_u32 s25, s25, 0
	s_mov_b32 s0, exec_lo
	v_lshl_add_u32 v10, s6, 1, v3
	s_waitcnt lgkmcnt(0)
	v_cmpx_gt_u64_e64 s[8:9], v[10:11]
	s_cbranch_execz .LBB0_23
; %bb.1:
	s_clause 0x1
	s_load_dwordx4 s[0:3], s[4:5], 0x18
	s_load_dwordx2 s[16:17], s[4:5], 0x0
	v_mul_lo_u16 v1, 0x64, v3
	v_and_b32_e32 v3, 1, v3
	v_sub_nc_u16 v2, v0, v1
	v_and_b32_e32 v11, 0xffff, v2
	v_lshlrev_b32_e32 v36, 4, v11
	v_or_b32_e32 v16, 0x280, v11
	v_or_b32_e32 v37, 0x500, v11
	s_waitcnt lgkmcnt(0)
	s_load_dwordx4 s[12:15], s[0:1], 0x0
	v_add_co_u32 v252, s0, s16, v36
	v_add_co_ci_u32_e64 v253, null, s17, 0, s0
	global_load_dwordx4 v[106:109], v36, s[16:17]
	v_add_co_u32 v0, vcc_lo, 0x800, v252
	v_add_co_ci_u32_e32 v1, vcc_lo, 0, v253, vcc_lo
	v_add_co_u32 v14, vcc_lo, 0x1000, v252
	v_add_co_ci_u32_e32 v15, vcc_lo, 0, v253, vcc_lo
	global_load_dwordx4 v[110:113], v[0:1], off offset:512
	buffer_store_dword v14, off, s[24:27], 0 offset:40 ; 4-byte Folded Spill
	buffer_store_dword v15, off, s[24:27], 0 offset:44 ; 4-byte Folded Spill
	v_add_co_u32 v12, vcc_lo, 0x1800, v252
	v_add_co_ci_u32_e32 v13, vcc_lo, 0, v253, vcc_lo
	s_waitcnt lgkmcnt(0)
	v_mad_u64_u32 v[4:5], null, s14, v10, 0
	v_mad_u64_u32 v[6:7], null, s12, v11, 0
	v_lshlrev_b32_e32 v17, 4, v16
	v_add_co_u32 v8, vcc_lo, 0x3000, v252
	v_add_co_ci_u32_e32 v9, vcc_lo, 0, v253, vcc_lo
	v_mov_b32_e32 v0, v5
	v_mov_b32_e32 v5, v10
	v_mov_b32_e32 v1, v7
	s_mul_i32 s1, s13, 0xa0
	s_mul_hi_u32 s6, s12, 0xa0
	s_mul_i32 s0, s12, 0xa0
	s_add_i32 s1, s6, s1
	v_lshlrev_b32_e32 v39, 4, v37
	global_load_dwordx4 v[102:105], v[14:15], off offset:1024
	buffer_store_dword v12, off, s[24:27], 0 offset:28 ; 4-byte Folded Spill
	buffer_store_dword v13, off, s[24:27], 0 offset:32 ; 4-byte Folded Spill
	;; [unrolled: 1-line block ×3, first 2 shown]
	s_clause 0x2
	global_load_dwordx4 v[98:101], v[12:13], off offset:1536
	global_load_dwordx4 v[94:97], v17, s[16:17]
	global_load_dwordx4 v[90:93], v[8:9], off offset:512
	buffer_store_dword v5, off, s[24:27], 0 offset:4 ; 4-byte Folded Spill
	buffer_store_dword v6, off, s[24:27], 0 offset:8 ; 4-byte Folded Spill
	v_mad_u64_u32 v[7:8], null, s15, v10, v[0:1]
	v_mad_u64_u32 v[0:1], null, s13, v11, v[1:2]
	buffer_store_dword v11, off, s[24:27], 0 ; 4-byte Folded Spill
	v_mad_u64_u32 v[8:9], null, s12, v16, 0
	v_mad_u64_u32 v[10:11], null, s12, v37, 0
	v_mov_b32_e32 v5, v7
	v_mov_b32_e32 v7, v0
	s_lshl_b64 s[14:15], s[0:1], 4
	s_mul_i32 s0, s13, 0x1400
	buffer_store_dword v16, off, s[24:27], 0 offset:36 ; 4-byte Folded Spill
	v_lshlrev_b64 v[0:1], 4, v[4:5]
	v_mov_b32_e32 v4, v9
	v_mov_b32_e32 v5, v11
	v_add_co_u32 v14, vcc_lo, s10, v0
	v_add_co_ci_u32_e32 v15, vcc_lo, s11, v1, vcc_lo
	v_mad_u64_u32 v[0:1], null, s13, v16, v[4:5]
	v_mov_b32_e32 v9, v0
	v_lshlrev_b64 v[6:7], 4, v[6:7]
	v_add_co_u32 v6, vcc_lo, v14, v6
	v_add_co_ci_u32_e32 v7, vcc_lo, v15, v7, vcc_lo
	v_add_co_u32 v12, vcc_lo, v6, s14
	v_add_co_ci_u32_e32 v13, vcc_lo, s15, v7, vcc_lo
	v_mad_u64_u32 v[4:5], null, s13, v37, v[5:6]
	v_add_co_u32 v0, vcc_lo, v12, s14
	v_add_co_ci_u32_e32 v1, vcc_lo, s15, v13, vcc_lo
	v_add_co_u32 v20, vcc_lo, v0, s14
	v_add_co_ci_u32_e32 v21, vcc_lo, s15, v1, vcc_lo
	v_mov_b32_e32 v11, v4
	v_lshlrev_b64 v[4:5], 4, v[8:9]
	v_mad_u64_u32 v[24:25], null, 0x1400, s12, v[20:21]
	v_lshlrev_b64 v[8:9], 4, v[10:11]
	v_add_co_u32 v10, vcc_lo, v14, v4
	v_add_co_ci_u32_e32 v11, vcc_lo, v15, v5, vcc_lo
	v_add_co_u32 v32, vcc_lo, v14, v8
	v_add_nc_u32_e32 v25, s0, v25
	v_add_co_ci_u32_e32 v33, vcc_lo, v15, v9, vcc_lo
	v_add_co_u32 v34, vcc_lo, v24, s14
	v_add_co_ci_u32_e32 v35, vcc_lo, s15, v25, vcc_lo
	s_clause 0x5
	global_load_dwordx4 v[4:7], v[6:7], off
	global_load_dwordx4 v[8:11], v[10:11], off
	;; [unrolled: 1-line block ×7, first 2 shown]
	v_add_co_u32 v34, vcc_lo, v34, s14
	v_add_co_ci_u32_e32 v35, vcc_lo, s15, v35, vcc_lo
	v_add_co_u32 v44, vcc_lo, 0x3800, v252
	v_add_co_ci_u32_e32 v45, vcc_lo, 0, v253, vcc_lo
	buffer_store_dword v37, off, s[24:27], 0 offset:48 ; 4-byte Folded Spill
	global_load_dwordx4 v[40:43], v[32:33], off
	global_load_dwordx4 v[114:117], v39, s[16:17]
	buffer_store_dword v44, off, s[24:27], 0 offset:20 ; 4-byte Folded Spill
	buffer_store_dword v45, off, s[24:27], 0 offset:24 ; 4-byte Folded Spill
	v_add_co_u32 v37, vcc_lo, 0x4000, v252
	v_add_co_ci_u32_e32 v38, vcc_lo, 0, v253, vcc_lo
	v_mad_u64_u32 v[0:1], null, 0x1400, s12, v[34:35]
	v_add_co_u32 v32, vcc_lo, 0x5800, v252
	v_add_co_ci_u32_e32 v33, vcc_lo, 0, v253, vcc_lo
	v_cmp_eq_u32_e32 vcc_lo, 1, v3
	global_load_dwordx4 v[126:129], v[44:45], off offset:1024
	global_load_dwordx4 v[44:47], v[34:35], off
	buffer_store_dword v37, off, s[24:27], 0 offset:12 ; 4-byte Folded Spill
	buffer_store_dword v38, off, s[24:27], 0 offset:16 ; 4-byte Folded Spill
	v_add_nc_u32_e32 v1, s0, v1
	s_waitcnt vmcnt(10)
	v_mul_f64 v[52:53], v[4:5], v[108:109]
	s_waitcnt vmcnt(9)
	v_mul_f64 v[54:55], v[10:11], v[96:97]
	v_mul_f64 v[56:57], v[8:9], v[96:97]
	s_waitcnt vmcnt(8)
	v_mul_f64 v[60:61], v[14:15], v[112:113]
	;; [unrolled: 3-line block ×5, first 2 shown]
	v_mul_f64 v[74:75], v[26:27], v[92:93]
	v_mul_f64 v[72:73], v[40:41], v[116:117]
	;; [unrolled: 1-line block ×3, first 2 shown]
	s_clause 0x1
	global_load_dwordx4 v[122:125], v[37:38], off offset:1536
	global_load_dwordx4 v[118:121], v[32:33], off offset:512
	global_load_dwordx4 v[48:51], v[0:1], off
	v_mul_f64 v[32:33], v[6:7], v[108:109]
	v_fma_f64 v[40:41], v[40:41], v[114:115], v[58:59]
	s_waitcnt vmcnt(4)
	v_mul_f64 v[78:79], v[30:31], v[128:129]
	v_mul_f64 v[80:81], v[28:29], v[128:129]
	v_cndmask_b32_e64 v37, 0, 0x6400, vcc_lo
	v_cmp_gt_u16_e32 vcc_lo, 60, v2
	v_fma_f64 v[3:4], v[4:5], v[106:107], v[32:33]
	buffer_store_dword v106, off, s[24:27], 0 offset:116 ; 4-byte Folded Spill
	buffer_store_dword v107, off, s[24:27], 0 offset:120 ; 4-byte Folded Spill
	buffer_store_dword v108, off, s[24:27], 0 offset:124 ; 4-byte Folded Spill
	buffer_store_dword v109, off, s[24:27], 0 offset:128 ; 4-byte Folded Spill
	v_add_nc_u32_e32 v32, v37, v36
	s_waitcnt vmcnt(2)
	v_mul_f64 v[82:83], v[46:47], v[124:125]
	v_mul_f64 v[84:85], v[44:45], v[124:125]
	s_waitcnt vmcnt(0)
	v_mul_f64 v[86:87], v[50:51], v[120:121]
	v_mul_f64 v[88:89], v[48:49], v[120:121]
	v_fma_f64 v[44:45], v[44:45], v[122:123], v[82:83]
	v_fma_f64 v[5:6], v[6:7], v[106:107], -v[52:53]
	v_fma_f64 v[7:8], v[8:9], v[94:95], v[54:55]
	buffer_store_dword v94, off, s[24:27], 0 offset:68 ; 4-byte Folded Spill
	buffer_store_dword v95, off, s[24:27], 0 offset:72 ; 4-byte Folded Spill
	;; [unrolled: 1-line block ×4, first 2 shown]
	v_fma_f64 v[48:49], v[48:49], v[118:119], v[86:87]
	v_fma_f64 v[9:10], v[10:11], v[94:95], -v[56:57]
	v_fma_f64 v[11:12], v[12:13], v[110:111], v[60:61]
	buffer_store_dword v110, off, s[24:27], 0 offset:132 ; 4-byte Folded Spill
	buffer_store_dword v111, off, s[24:27], 0 offset:136 ; 4-byte Folded Spill
	buffer_store_dword v112, off, s[24:27], 0 offset:140 ; 4-byte Folded Spill
	buffer_store_dword v113, off, s[24:27], 0 offset:144 ; 4-byte Folded Spill
	v_fma_f64 v[13:14], v[14:15], v[110:111], -v[62:63]
	v_fma_f64 v[15:16], v[16:17], v[102:103], v[64:65]
	buffer_store_dword v102, off, s[24:27], 0 offset:100 ; 4-byte Folded Spill
	buffer_store_dword v103, off, s[24:27], 0 offset:104 ; 4-byte Folded Spill
	buffer_store_dword v104, off, s[24:27], 0 offset:108 ; 4-byte Folded Spill
	buffer_store_dword v105, off, s[24:27], 0 offset:112 ; 4-byte Folded Spill
	;; [unrolled: 6-line block ×3, first 2 shown]
	buffer_store_dword v114, off, s[24:27], 0 offset:148 ; 4-byte Folded Spill
	buffer_store_dword v115, off, s[24:27], 0 offset:152 ; 4-byte Folded Spill
	;; [unrolled: 1-line block ×4, first 2 shown]
	v_fma_f64 v[21:22], v[22:23], v[98:99], -v[70:71]
	v_fma_f64 v[23:24], v[24:25], v[90:91], v[74:75]
	buffer_store_dword v90, off, s[24:27], 0 offset:52 ; 4-byte Folded Spill
	buffer_store_dword v91, off, s[24:27], 0 offset:56 ; 4-byte Folded Spill
	;; [unrolled: 1-line block ×4, first 2 shown]
	v_fma_f64 v[42:43], v[42:43], v[114:115], -v[72:73]
	v_fma_f64 v[25:26], v[26:27], v[90:91], -v[76:77]
	v_fma_f64 v[27:28], v[28:29], v[126:127], v[78:79]
	buffer_store_dword v126, off, s[24:27], 0 offset:196 ; 4-byte Folded Spill
	buffer_store_dword v127, off, s[24:27], 0 offset:200 ; 4-byte Folded Spill
	;; [unrolled: 1-line block ×12, first 2 shown]
	s_load_dwordx2 s[6:7], s[4:5], 0x38
	s_load_dwordx4 s[8:11], s[2:3], 0x0
	ds_write_b128 v32, v[3:6]
	ds_write_b128 v32, v[11:14] offset:2560
	ds_write_b128 v32, v[15:18] offset:5120
	;; [unrolled: 1-line block ×5, first 2 shown]
	v_fma_f64 v[29:30], v[30:31], v[126:127], -v[80:81]
	v_fma_f64 v[46:47], v[46:47], v[122:123], -v[84:85]
	;; [unrolled: 1-line block ×3, first 2 shown]
	ds_write_b128 v32, v[27:30] offset:15360
	ds_write_b128 v32, v[44:47] offset:17920
	;; [unrolled: 1-line block ×4, first 2 shown]
	s_and_saveexec_b32 s1, vcc_lo
	s_cbranch_execz .LBB0_3
; %bb.2:
	v_mad_u64_u32 v[12:13], null, 0xffffac40, s12, v[0:1]
	global_load_dwordx4 v[0:3], v[252:253], off offset:1600
	s_clause 0x1
	buffer_load_dword v4, off, s[24:27], 0 offset:40
	buffer_load_dword v5, off, s[24:27], 0 offset:44
	s_mul_i32 s0, s13, 0xffffac40
	s_sub_i32 s0, s0, s12
	v_add_nc_u32_e32 v13, s0, v13
	v_add_co_u32 v16, s0, v12, s14
	v_add_co_ci_u32_e64 v17, s0, s15, v13, s0
	v_add_co_u32 v20, s0, v16, s14
	v_add_co_ci_u32_e64 v21, s0, s15, v17, s0
	;; [unrolled: 2-line block ×4, first 2 shown]
	global_load_dwordx4 v[8:11], v[8:9], off offset:1088
	v_add_co_u32 v33, s0, v24, s14
	v_add_co_ci_u32_e64 v34, s0, s15, v25, s0
	v_add_co_u32 v40, s0, 0x2800, v252
	v_add_co_ci_u32_e64 v41, s0, 0, v253, s0
	s_waitcnt vmcnt(1)
	global_load_dwordx4 v[4:7], v[4:5], off offset:64
	global_load_dwordx4 v[12:15], v[12:13], off
	global_load_dwordx4 v[16:19], v[16:17], off
	;; [unrolled: 1-line block ×5, first 2 shown]
	v_add_co_u32 v33, s0, v33, s14
	v_add_co_ci_u32_e64 v34, s0, s15, v34, s0
	global_load_dwordx4 v[40:43], v[40:41], off offset:1600
	v_add_co_u32 v56, s0, v33, s14
	global_load_dwordx4 v[44:47], v[33:34], off
	s_clause 0x1
	buffer_load_dword v35, off, s[24:27], 0 offset:28
	buffer_load_dword v36, off, s[24:27], 0 offset:32
	v_add_co_ci_u32_e64 v57, s0, s15, v34, s0
	v_add_co_u32 v33, s0, v56, s14
	v_add_co_ci_u32_e64 v34, s0, s15, v57, s0
	v_add_co_u32 v68, s0, 0x4800, v252
	v_add_co_ci_u32_e64 v69, s0, 0, v253, s0
	s_waitcnt vmcnt(7)
	v_mul_f64 v[88:89], v[18:19], v[6:7]
	v_mul_f64 v[6:7], v[16:17], v[6:7]
	s_waitcnt vmcnt(5)
	v_mul_f64 v[92:93], v[26:27], v[10:11]
	v_mul_f64 v[94:95], v[24:25], v[10:11]
	;; [unrolled: 3-line block ×3, first 2 shown]
	s_waitcnt vmcnt(0)
	global_load_dwordx4 v[48:51], v[35:36], off offset:576
	s_clause 0x1
	buffer_load_dword v35, off, s[24:27], 0 offset:20
	buffer_load_dword v36, off, s[24:27], 0 offset:24
	s_waitcnt vmcnt(0)
	global_load_dwordx4 v[52:55], v[35:36], off offset:64
	global_load_dwordx4 v[56:59], v[56:57], off
	s_clause 0x1
	buffer_load_dword v35, off, s[24:27], 0 offset:12
	buffer_load_dword v36, off, s[24:27], 0 offset:16
	v_mul_f64 v[90:91], v[22:23], v[50:51]
	v_mul_f64 v[50:51], v[20:21], v[50:51]
	s_waitcnt vmcnt(0)
	global_load_dwordx4 v[60:63], v[35:36], off offset:576
	global_load_dwordx4 v[64:67], v[33:34], off
	v_add_co_u32 v33, s0, v33, s14
	v_add_co_ci_u32_e64 v34, s0, s15, v34, s0
	v_add_co_u32 v76, s0, 0x5000, v252
	v_add_co_ci_u32_e64 v77, s0, 0, v253, s0
	;; [unrolled: 2-line block ×4, first 2 shown]
	global_load_dwordx4 v[68:71], v[68:69], off offset:1088
	global_load_dwordx4 v[72:75], v[33:34], off
	s_clause 0x1
	global_load_dwordx4 v[76:79], v[76:77], off offset:1600
	global_load_dwordx4 v[80:83], v[80:81], off offset:64
	global_load_dwordx4 v[84:87], v[84:85], off
	v_mul_f64 v[33:34], v[14:15], v[2:3]
	v_mul_f64 v[2:3], v[12:13], v[2:3]
	;; [unrolled: 1-line block ×4, first 2 shown]
	v_fma_f64 v[10:11], v[12:13], v[0:1], v[33:34]
	v_fma_f64 v[12:13], v[14:15], v[0:1], -v[2:3]
	v_fma_f64 v[0:1], v[16:17], v[4:5], v[88:89]
	v_fma_f64 v[2:3], v[18:19], v[4:5], -v[6:7]
	;; [unrolled: 2-line block ×6, first 2 shown]
	s_waitcnt vmcnt(6)
	v_mul_f64 v[100:101], v[58:59], v[62:63]
	v_mul_f64 v[62:63], v[56:57], v[62:63]
	s_waitcnt vmcnt(4)
	v_mul_f64 v[102:103], v[66:67], v[70:71]
	v_mul_f64 v[70:71], v[64:65], v[70:71]
	;; [unrolled: 3-line block ×4, first 2 shown]
	v_fma_f64 v[26:27], v[56:57], v[60:61], v[100:101]
	v_fma_f64 v[28:29], v[58:59], v[60:61], -v[62:63]
	v_fma_f64 v[40:41], v[64:65], v[68:69], v[102:103]
	v_fma_f64 v[42:43], v[66:67], v[68:69], -v[70:71]
	;; [unrolled: 2-line block ×4, first 2 shown]
	ds_write_b128 v32, v[10:13] offset:1600
	ds_write_b128 v32, v[0:3] offset:4160
	;; [unrolled: 1-line block ×10, first 2 shown]
.LBB0_3:
	s_or_b32 exec_lo, exec_lo, s1
	s_waitcnt lgkmcnt(0)
	s_waitcnt_vscnt null, 0x0
	s_barrier
	buffer_gl0_inv
	ds_read_b128 v[104:107], v32
	ds_read_b128 v[108:111], v32 offset:2560
	ds_read_b128 v[116:119], v32 offset:5120
	;; [unrolled: 1-line block ×9, first 2 shown]
                                        ; implicit-def: $vgpr60_vgpr61
                                        ; implicit-def: $vgpr64_vgpr65
                                        ; implicit-def: $vgpr68_vgpr69
                                        ; implicit-def: $vgpr72_vgpr73
                                        ; implicit-def: $vgpr76_vgpr77
                                        ; implicit-def: $vgpr56_vgpr57
                                        ; implicit-def: $vgpr52_vgpr53
                                        ; implicit-def: $vgpr48_vgpr49
                                        ; implicit-def: $vgpr44_vgpr45
                                        ; implicit-def: $vgpr40_vgpr41
	s_and_saveexec_b32 s0, vcc_lo
	s_cbranch_execz .LBB0_5
; %bb.4:
	ds_read_b128 v[40:43], v32 offset:1600
	ds_read_b128 v[44:47], v32 offset:4160
	;; [unrolled: 1-line block ×10, first 2 shown]
.LBB0_5:
	s_or_b32 exec_lo, exec_lo, s0
	s_waitcnt lgkmcnt(2)
	v_add_f64 v[0:1], v[100:101], v[92:93]
	s_waitcnt lgkmcnt(0)
	v_add_f64 v[4:5], v[112:113], v[84:85]
	v_add_f64 v[18:19], v[114:115], -v[86:87]
	v_add_f64 v[22:23], v[102:103], v[94:95]
	s_mov_b32 s0, 0x134454ff
	s_mov_b32 s1, 0x3fee6f0e
	v_add_f64 v[2:3], v[114:115], v[86:87]
	v_add_f64 v[8:9], v[96:97], v[88:89]
	v_add_f64 v[20:21], v[102:103], -v[94:95]
	v_add_f64 v[26:27], v[116:117], v[80:81]
	v_add_f64 v[128:129], v[112:113], -v[100:101]
	v_add_f64 v[130:131], v[84:85], -v[92:93]
	;; [unrolled: 1-line block ×5, first 2 shown]
	s_mov_b32 s2, 0x4755a5e
	s_mov_b32 s3, 0x3fe2cf23
	;; [unrolled: 1-line block ×4, first 2 shown]
	v_add_f64 v[6:7], v[104:105], v[116:117]
	v_add_f64 v[12:13], v[98:99], -v[90:91]
	v_add_f64 v[24:25], v[100:101], -v[92:93]
	v_fma_f64 v[0:1], v[0:1], -0.5, v[108:109]
	v_fma_f64 v[4:5], v[4:5], -0.5, v[108:109]
	v_add_f64 v[120:121], v[98:99], v[90:91]
	v_fma_f64 v[22:23], v[22:23], -0.5, v[110:111]
	v_add_f64 v[136:137], v[102:103], -v[114:115]
	v_add_f64 v[138:139], v[94:95], -v[86:87]
	v_fma_f64 v[2:3], v[2:3], -0.5, v[110:111]
	v_add_f64 v[142:143], v[118:119], v[82:83]
	v_add_f64 v[108:109], v[108:109], v[112:113]
	;; [unrolled: 1-line block ×3, first 2 shown]
	v_add_f64 v[112:113], v[114:115], -v[102:103]
	v_add_f64 v[114:115], v[86:87], -v[94:95]
	v_fma_f64 v[8:9], v[8:9], -0.5, v[104:105]
	v_fma_f64 v[26:27], v[26:27], -0.5, v[104:105]
	v_add_f64 v[104:105], v[128:129], v[130:131]
	v_add_f64 v[128:129], v[132:133], v[134:135]
	s_mov_b32 s12, 0x372fe950
	s_mov_b32 s13, 0x3fd3c6ef
	;; [unrolled: 1-line block ×4, first 2 shown]
	v_add_f64 v[10:11], v[118:119], -v[82:83]
	v_add_f64 v[14:15], v[116:117], -v[96:97]
	v_fma_f64 v[144:145], v[18:19], s[0:1], v[0:1]
	v_fma_f64 v[148:149], v[20:21], s[0:1], v[4:5]
	;; [unrolled: 1-line block ×4, first 2 shown]
	v_add_f64 v[16:17], v[80:81], -v[88:89]
	v_add_f64 v[28:29], v[96:97], -v[116:117]
	;; [unrolled: 1-line block ×3, first 2 shown]
	v_add_f64 v[33:34], v[106:107], v[118:119]
	v_add_f64 v[116:117], v[116:117], -v[80:81]
	v_add_f64 v[122:123], v[96:97], -v[88:89]
	v_fma_f64 v[146:147], v[24:25], s[0:1], v[2:3]
	v_add_f64 v[130:131], v[136:137], v[138:139]
	v_add_f64 v[6:7], v[6:7], v[96:97]
	v_fma_f64 v[120:121], v[120:121], -0.5, v[106:107]
	v_fma_f64 v[106:107], v[142:143], -0.5, v[106:107]
	v_add_f64 v[100:101], v[108:109], v[100:101]
	v_fma_f64 v[0:1], v[18:19], s[14:15], v[0:1]
	v_add_f64 v[108:109], v[112:113], v[114:115]
	v_fma_f64 v[114:115], v[12:13], s[14:15], v[26:27]
	v_fma_f64 v[26:27], v[12:13], s[0:1], v[26:27]
	s_mov_b32 s20, 0x9b97f4a8
	s_mov_b32 s21, 0x3fe9e377
	v_fma_f64 v[134:135], v[20:21], s[2:3], v[144:145]
	v_fma_f64 v[138:139], v[18:19], s[18:19], v[148:149]
	v_fma_f64 v[4:5], v[18:19], s[2:3], v[4:5]
	v_fma_f64 v[18:19], v[24:25], s[18:19], v[132:133]
	v_add_f64 v[124:125], v[118:119], -v[98:99]
	v_add_f64 v[126:127], v[82:83], -v[90:91]
	;; [unrolled: 1-line block ×4, first 2 shown]
	v_fma_f64 v[2:3], v[24:25], s[14:15], v[2:3]
	v_add_f64 v[96:97], v[60:61], v[68:69]
	v_fma_f64 v[136:137], v[140:141], s[18:19], v[146:147]
	v_fma_f64 v[112:113], v[10:11], s[0:1], v[8:9]
	v_add_f64 v[14:15], v[14:15], v[16:17]
	v_add_f64 v[16:17], v[28:29], v[30:31]
	;; [unrolled: 1-line block ×5, first 2 shown]
	v_fma_f64 v[8:9], v[10:11], s[14:15], v[8:9]
	v_fma_f64 v[33:34], v[116:117], s[14:15], v[120:121]
	;; [unrolled: 1-line block ×8, first 2 shown]
	v_add_f64 v[20:21], v[100:101], v[92:93]
	v_fma_f64 v[100:101], v[10:11], s[2:3], v[114:115]
	v_fma_f64 v[10:11], v[10:11], s[18:19], v[26:27]
	;; [unrolled: 1-line block ×3, first 2 shown]
	v_add_f64 v[114:115], v[62:63], v[70:71]
	v_add_f64 v[120:121], v[78:79], v[54:55]
	v_fma_f64 v[2:3], v[140:141], s[2:3], v[2:3]
	v_fma_f64 v[134:135], v[130:131], s[12:13], v[136:137]
	;; [unrolled: 1-line block ×5, first 2 shown]
	v_add_f64 v[112:113], v[76:77], v[52:53]
	v_add_f64 v[124:125], v[124:125], v[126:127]
	;; [unrolled: 1-line block ×6, first 2 shown]
	v_fma_f64 v[6:7], v[12:13], s[18:19], v[8:9]
	v_fma_f64 v[8:9], v[122:123], s[18:19], v[33:34]
	v_mul_f64 v[26:27], v[132:133], s[20:21]
	v_fma_f64 v[12:13], v[24:25], s[2:3], v[22:23]
	v_fma_f64 v[0:1], v[104:105], s[12:13], v[0:1]
	;; [unrolled: 1-line block ×5, first 2 shown]
	v_add_f64 v[102:103], v[20:21], v[84:85]
	v_fma_f64 v[116:117], v[16:17], s[12:13], v[100:101]
	v_fma_f64 v[122:123], v[16:17], s[12:13], v[10:11]
	v_add_f64 v[16:17], v[52:53], -v[76:77]
	v_add_f64 v[20:21], v[60:61], -v[68:69]
	v_fma_f64 v[94:95], v[96:97], -0.5, v[44:45]
	v_fma_f64 v[96:97], v[120:121], -0.5, v[46:47]
	v_add_f64 v[152:153], v[64:65], v[56:57]
	v_add_f64 v[146:147], v[72:73], v[48:49]
	;; [unrolled: 1-line block ×4, first 2 shown]
	v_add_f64 v[156:157], v[54:55], -v[78:79]
	v_add_f64 v[142:143], v[62:63], -v[70:71]
	v_fma_f64 v[2:3], v[130:131], s[12:13], v[2:3]
	v_fma_f64 v[104:105], v[14:15], s[12:13], v[92:93]
	v_add_f64 v[10:11], v[52:53], -v[60:61]
	v_fma_f64 v[128:129], v[18:19], s[2:3], v[26:27]
	v_fma_f64 v[26:27], v[114:115], -0.5, v[46:47]
	v_fma_f64 v[98:99], v[112:113], -0.5, v[44:45]
	v_add_f64 v[114:115], v[28:29], v[82:83]
	v_add_f64 v[120:121], v[30:31], v[86:87]
	v_fma_f64 v[12:13], v[108:109], s[12:13], v[12:13]
	v_mul_f64 v[28:29], v[0:1], s[20:21]
	v_fma_f64 v[130:131], v[14:15], s[12:13], v[6:7]
	v_fma_f64 v[138:139], v[124:125], s[12:13], v[8:9]
	;; [unrolled: 1-line block ×4, first 2 shown]
	v_mul_f64 v[6:7], v[132:133], s[18:19]
	v_add_f64 v[8:9], v[76:77], -v[68:69]
	v_add_f64 v[14:15], v[60:61], -v[52:53]
	;; [unrolled: 1-line block ×5, first 2 shown]
	v_fma_f64 v[86:87], v[20:21], s[0:1], v[96:97]
	v_add_f64 v[100:101], v[62:63], -v[54:55]
	v_add_f64 v[108:109], v[70:71], -v[78:79]
	;; [unrolled: 1-line block ×3, first 2 shown]
	v_mul_f64 v[110:111], v[136:137], s[12:13]
	v_fma_f64 v[90:91], v[152:153], -0.5, v[40:41]
	v_fma_f64 v[24:25], v[16:17], s[14:15], v[26:27]
	v_fma_f64 v[33:34], v[118:119], s[12:13], v[33:34]
	;; [unrolled: 1-line block ×5, first 2 shown]
	v_fma_f64 v[132:133], v[12:13], s[2:3], -v[28:29]
	v_fma_f64 v[28:29], v[156:157], s[0:1], v[94:95]
	v_fma_f64 v[94:95], v[142:143], s[14:15], v[98:99]
	;; [unrolled: 1-line block ×3, first 2 shown]
	v_add_f64 v[152:153], v[56:57], -v[64:65]
	v_fma_f64 v[150:151], v[18:19], s[20:21], v[6:7]
	v_add_f64 v[6:7], v[58:59], -v[66:67]
	v_fma_f64 v[18:19], v[146:147], -0.5, v[40:41]
	v_fma_f64 v[146:147], v[148:149], -0.5, v[42:43]
	v_add_f64 v[148:149], v[48:49], -v[72:73]
	v_fma_f64 v[154:155], v[154:155], -0.5, v[42:43]
	v_add_f64 v[8:9], v[8:9], v[10:11]
	v_add_f64 v[10:11], v[22:23], v[14:15]
	;; [unrolled: 1-line block ×4, first 2 shown]
	v_fma_f64 v[110:111], v[2:3], s[0:1], -v[110:111]
	v_fma_f64 v[98:99], v[144:145], s[0:1], v[90:91]
	v_fma_f64 v[14:15], v[20:21], s[18:19], v[24:25]
	;; [unrolled: 1-line block ×5, first 2 shown]
	v_add_f64 v[100:101], v[48:49], -v[56:57]
	v_fma_f64 v[16:17], v[16:17], s[2:3], v[96:97]
	v_fma_f64 v[28:29], v[142:143], s[2:3], v[28:29]
	;; [unrolled: 1-line block ×4, first 2 shown]
	v_add_f64 v[26:27], v[72:73], -v[64:65]
	v_fma_f64 v[90:91], v[144:145], s[14:15], v[90:91]
	v_add_f64 v[108:109], v[56:57], -v[48:49]
	v_fma_f64 v[96:97], v[6:7], s[14:15], v[18:19]
	;; [unrolled: 2-line block ×3, first 2 shown]
	v_fma_f64 v[118:119], v[148:149], s[14:15], v[146:147]
	v_fma_f64 v[158:159], v[152:153], s[0:1], v[154:155]
	v_add_f64 v[160:161], v[58:59], -v[50:51]
	v_add_f64 v[162:163], v[66:67], -v[74:75]
	v_mul_f64 v[2:3], v[2:3], s[12:13]
	v_fma_f64 v[146:147], v[148:149], s[0:1], v[146:147]
	v_add_f64 v[80:81], v[126:127], v[102:103]
	v_fma_f64 v[164:165], v[22:23], s[12:13], v[14:15]
	v_fma_f64 v[24:25], v[30:31], s[12:13], v[24:25]
	;; [unrolled: 1-line block ×8, first 2 shown]
	v_mul_f64 v[8:9], v[12:13], s[20:21]
	v_fma_f64 v[10:11], v[6:7], s[2:3], v[98:99]
	v_add_f64 v[12:13], v[26:27], v[100:101]
	v_fma_f64 v[6:7], v[6:7], s[18:19], v[90:91]
	v_add_f64 v[82:83], v[114:115], v[120:121]
	v_add_f64 v[26:27], v[112:113], v[108:109]
	v_fma_f64 v[18:19], v[144:145], s[18:19], v[18:19]
	v_fma_f64 v[30:31], v[152:153], s[18:19], v[118:119]
	;; [unrolled: 1-line block ×3, first 2 shown]
	v_mul_f64 v[106:107], v[134:135], s[0:1]
	v_add_f64 v[108:109], v[162:163], v[160:161]
	v_fma_f64 v[136:137], v[136:137], s[14:15], -v[2:3]
	v_fma_f64 v[98:99], v[152:153], s[2:3], v[146:147]
	v_add_f64 v[142:143], v[50:51], -v[58:59]
	v_add_f64 v[156:157], v[74:75], -v[66:67]
	v_mul_f64 v[118:119], v[24:25], s[0:1]
	v_fma_f64 v[20:21], v[22:23], s[12:13], v[20:21]
	v_fma_f64 v[22:23], v[144:145], s[2:3], v[96:97]
	v_mul_f64 v[112:113], v[164:165], s[2:3]
	v_mul_f64 v[144:145], v[168:169], s[20:21]
	v_fma_f64 v[146:147], v[148:149], s[2:3], v[14:15]
	v_mul_f64 v[152:153], v[94:95], s[14:15]
	v_fma_f64 v[158:159], v[0:1], s[18:19], -v[8:9]
	v_mul_f64 v[148:149], v[28:29], s[18:19]
	v_fma_f64 v[0:1], v[12:13], s[12:13], v[10:11]
	v_fma_f64 v[10:11], v[12:13], s[12:13], v[6:7]
	v_mul_f64 v[154:155], v[16:17], s[12:13]
	v_add_f64 v[84:85], v[104:105], v[128:129]
	v_fma_f64 v[8:9], v[26:27], s[12:13], v[18:19]
	v_add_f64 v[86:87], v[138:139], v[150:151]
	v_add_f64 v[104:105], v[104:105], -v[128:129]
	v_fma_f64 v[106:107], v[4:5], s[12:13], v[106:107]
	v_fma_f64 v[18:19], v[108:109], s[12:13], v[100:101]
	v_add_f64 v[100:101], v[126:127], -v[102:103]
	v_add_f64 v[102:103], v[114:115], -v[120:121]
	;; [unrolled: 1-line block ×3, first 2 shown]
	v_mul_f64 v[4:5], v[4:5], s[14:15]
	v_fma_f64 v[6:7], v[94:95], s[12:13], v[118:119]
	v_add_f64 v[94:95], v[33:34], v[136:137]
	buffer_load_dword v34, off, s[24:27], 0 ; 4-byte Folded Reload
	v_add_f64 v[90:91], v[156:157], v[142:143]
	v_mul_f64 v[142:143], v[166:167], s[12:13]
	v_mul_f64 v[156:157], v[20:21], s[20:21]
	v_fma_f64 v[2:3], v[26:27], s[12:13], v[22:23]
	v_fma_f64 v[26:27], v[108:109], s[12:13], v[146:147]
	;; [unrolled: 1-line block ×3, first 2 shown]
	v_add_f64 v[92:93], v[122:123], v[110:111]
	v_add_f64 v[118:119], v[124:125], -v[158:159]
	v_add_f64 v[96:97], v[130:131], v[132:133]
	s_waitcnt vmcnt(0)
	s_barrier
	buffer_gl0_inv
	v_add_f64 v[88:89], v[116:117], v[106:107]
	v_add_f64 v[108:109], v[116:117], -v[106:107]
	v_add_f64 v[106:107], v[138:139], -v[150:151]
	;; [unrolled: 1-line block ×3, first 2 shown]
	v_fma_f64 v[134:135], v[134:135], s[12:13], v[4:5]
	v_fma_f64 v[4:5], v[28:29], s[20:21], v[112:113]
	v_fma_f64 v[28:29], v[166:167], s[14:15], -v[154:155]
	v_add_f64 v[112:113], v[122:123], -v[110:111]
	v_fma_f64 v[14:15], v[90:91], s[12:13], v[30:31]
	v_fma_f64 v[22:23], v[90:91], s[12:13], v[98:99]
	v_fma_f64 v[12:13], v[16:17], s[0:1], -v[142:143]
	v_fma_f64 v[16:17], v[20:21], s[2:3], -v[144:145]
	v_fma_f64 v[20:21], v[164:165], s[20:21], v[148:149]
	v_fma_f64 v[30:31], v[168:169], s[18:19], -v[156:157]
	v_add_f64 v[176:177], v[2:3], -v[6:7]
	v_add_f64 v[178:179], v[18:19], -v[24:25]
	s_load_dwordx2 s[2:3], s[4:5], 0x8
	v_add_f64 v[98:99], v[124:125], v[158:159]
	v_add_f64 v[110:111], v[140:141], -v[134:135]
	v_add_f64 v[148:149], v[0:1], -v[4:5]
	;; [unrolled: 1-line block ×3, first 2 shown]
	v_add_f64 v[90:91], v[140:141], v[134:135]
	v_add_f64 v[180:181], v[8:9], -v[12:13]
	v_add_f64 v[172:173], v[10:11], -v[16:17]
	;; [unrolled: 1-line block ×4, first 2 shown]
	v_mul_lo_u16 v33, v34, 10
	v_add_co_u32 v196, null, 0x64, v34
	v_and_b32_e32 v33, 0xffff, v33
	v_mul_u32_u24_e32 v34, 10, v196
	v_lshl_add_u32 v33, v33, 4, v37
	ds_write_b128 v33, v[80:83]
	ds_write_b128 v33, v[84:87] offset:16
	ds_write_b128 v33, v[88:91] offset:32
	;; [unrolled: 1-line block ×5, first 2 shown]
	buffer_store_dword v34, off, s[24:27], 0 offset:216 ; 4-byte Folded Spill
	ds_write_b128 v33, v[104:107] offset:96
	ds_write_b128 v33, v[108:111] offset:112
	;; [unrolled: 1-line block ×4, first 2 shown]
	s_and_saveexec_b32 s0, vcc_lo
	s_cbranch_execz .LBB0_7
; %bb.6:
	v_add_f64 v[42:43], v[50:51], v[42:43]
	v_add_f64 v[46:47], v[54:55], v[46:47]
	;; [unrolled: 1-line block ×12, first 2 shown]
	v_mul_u32_u24_e32 v8, 10, v196
	v_lshl_add_u32 v8, v8, 4, v37
	v_add_f64 v[42:43], v[58:59], v[42:43]
	v_add_f64 v[46:47], v[62:63], v[46:47]
	v_add_f64 v[40:41], v[56:57], v[40:41]
	v_add_f64 v[44:45], v[60:61], v[44:45]
	v_add_f64 v[42:43], v[66:67], v[42:43]
	v_add_f64 v[46:47], v[70:71], v[46:47]
	v_add_f64 v[40:41], v[64:65], v[40:41]
	v_add_f64 v[44:45], v[68:69], v[44:45]
	v_add_f64 v[42:43], v[74:75], v[42:43]
	v_add_f64 v[46:47], v[78:79], v[46:47]
	v_add_f64 v[40:41], v[72:73], v[40:41]
	v_add_f64 v[44:45], v[76:77], v[44:45]
	v_add_f64 v[6:7], v[46:47], v[42:43]
	v_add_f64 v[2:3], v[42:43], -v[46:47]
	v_add_f64 v[4:5], v[44:45], v[40:41]
	v_add_f64 v[0:1], v[40:41], -v[44:45]
	ds_write_b128 v8, v[148:151] offset:96
	ds_write_b128 v8, v[176:179] offset:112
	ds_write_b128 v8, v[180:183] offset:128
	ds_write_b128 v8, v[12:15] offset:16
	ds_write_b128 v8, v[16:19] offset:32
	ds_write_b128 v8, v[24:27] offset:48
	ds_write_b128 v8, v[20:23] offset:64
	ds_write_b128 v8, v[4:7]
	ds_write_b128 v8, v[0:3] offset:80
	ds_write_b128 v8, v[172:175] offset:144
.LBB0_7:
	s_or_b32 exec_lo, exec_lo, s0
	buffer_load_dword v2, off, s[24:27], 0  ; 4-byte Folded Reload
	s_waitcnt vmcnt(0) lgkmcnt(0)
	s_waitcnt_vscnt null, 0x0
	s_barrier
	buffer_gl0_inv
	s_mov_b32 s0, 0x667f3bcd
	s_mov_b32 s1, 0xbfe6a09e
	;; [unrolled: 1-line block ×12, first 2 shown]
	v_and_b32_e32 v0, 0xff, v2
	v_mul_lo_u16 v0, 0xcd, v0
	v_lshrrev_b16 v0, 11, v0
	v_mul_lo_u16 v1, v0, 10
	v_sub_nc_u16 v1, v2, v1
	v_and_b32_e32 v1, 0xff, v1
	v_mad_u64_u32 v[26:27], null, 0xf0, v1, s[2:3]
	s_clause 0x7
	global_load_dwordx4 v[52:55], v[26:27], off
	global_load_dwordx4 v[48:51], v[26:27], off offset:16
	global_load_dwordx4 v[40:43], v[26:27], off offset:32
	;; [unrolled: 1-line block ×7, first 2 shown]
	ds_read_b128 v[2:5], v32 offset:1600
	ds_read_b128 v[6:9], v32 offset:3200
	;; [unrolled: 1-line block ×3, first 2 shown]
	ds_read_b128 v[14:17], v32
	ds_read_b128 v[18:21], v32 offset:6400
	ds_read_b128 v[22:25], v32 offset:8000
	s_waitcnt vmcnt(7) lgkmcnt(5)
	v_mul_f64 v[28:29], v[4:5], v[54:55]
	v_mul_f64 v[30:31], v[2:3], v[54:55]
	s_waitcnt vmcnt(6) lgkmcnt(4)
	v_mul_f64 v[72:73], v[8:9], v[50:51]
	v_mul_f64 v[74:75], v[6:7], v[50:51]
	;; [unrolled: 3-line block ×5, first 2 shown]
	v_fma_f64 v[28:29], v[2:3], v[52:53], -v[28:29]
	v_fma_f64 v[30:31], v[4:5], v[52:53], v[30:31]
	ds_read_b128 v[2:5], v32 offset:9600
	v_fma_f64 v[72:73], v[6:7], v[48:49], -v[72:73]
	v_fma_f64 v[74:75], v[8:9], v[48:49], v[74:75]
	ds_read_b128 v[6:9], v32 offset:11200
	v_fma_f64 v[10:11], v[10:11], v[40:41], -v[76:77]
	v_fma_f64 v[12:13], v[12:13], v[40:41], v[78:79]
	v_fma_f64 v[18:19], v[18:19], v[44:45], -v[80:81]
	v_fma_f64 v[20:21], v[20:21], v[44:45], v[82:83]
	v_fma_f64 v[22:23], v[22:23], v[60:61], -v[84:85]
	v_fma_f64 v[24:25], v[24:25], v[60:61], v[86:87]
	s_waitcnt vmcnt(2) lgkmcnt(1)
	v_mul_f64 v[76:77], v[4:5], v[66:67]
	v_mul_f64 v[78:79], v[2:3], v[66:67]
	v_fma_f64 v[76:77], v[2:3], v[64:65], -v[76:77]
	v_fma_f64 v[78:79], v[4:5], v[64:65], v[78:79]
	s_waitcnt vmcnt(1) lgkmcnt(0)
	v_mul_f64 v[2:3], v[8:9], v[58:59]
	v_mul_f64 v[4:5], v[6:7], v[58:59]
	v_fma_f64 v[80:81], v[6:7], v[56:57], -v[2:3]
	v_fma_f64 v[82:83], v[8:9], v[56:57], v[4:5]
	ds_read_b128 v[2:5], v32 offset:12800
	ds_read_b128 v[6:9], v32 offset:14400
	s_clause 0x1
	global_load_dwordx4 v[116:119], v[26:27], off offset:128
	global_load_dwordx4 v[108:111], v[26:27], off offset:144
	s_waitcnt vmcnt(2) lgkmcnt(1)
	v_mul_f64 v[84:85], v[4:5], v[70:71]
	v_fma_f64 v[84:85], v[2:3], v[68:69], -v[84:85]
	v_mul_f64 v[2:3], v[2:3], v[70:71]
	v_fma_f64 v[86:87], v[4:5], v[68:69], v[2:3]
	s_waitcnt vmcnt(1) lgkmcnt(0)
	v_mul_f64 v[2:3], v[8:9], v[118:119]
	v_fma_f64 v[88:89], v[6:7], v[116:117], -v[2:3]
	v_mul_f64 v[2:3], v[6:7], v[118:119]
	v_add_f64 v[88:89], v[28:29], -v[88:89]
	v_fma_f64 v[90:91], v[8:9], v[116:117], v[2:3]
	ds_read_b128 v[2:5], v32 offset:16000
	ds_read_b128 v[6:9], v32 offset:17600
	s_clause 0x1
	global_load_dwordx4 v[112:115], v[26:27], off offset:160
	global_load_dwordx4 v[128:131], v[26:27], off offset:176
	s_waitcnt vmcnt(2) lgkmcnt(1)
	v_mul_f64 v[92:93], v[4:5], v[110:111]
	v_fma_f64 v[28:29], v[28:29], 2.0, -v[88:89]
	v_add_f64 v[90:91], v[30:31], -v[90:91]
	v_fma_f64 v[92:93], v[2:3], v[108:109], -v[92:93]
	v_mul_f64 v[2:3], v[2:3], v[110:111]
	v_fma_f64 v[30:31], v[30:31], 2.0, -v[90:91]
	v_fma_f64 v[94:95], v[4:5], v[108:109], v[2:3]
	s_waitcnt vmcnt(1) lgkmcnt(0)
	v_mul_f64 v[2:3], v[8:9], v[114:115]
	v_fma_f64 v[96:97], v[6:7], v[112:113], -v[2:3]
	v_mul_f64 v[2:3], v[6:7], v[114:115]
	v_add_f64 v[138:139], v[10:11], -v[96:97]
	v_fma_f64 v[98:99], v[8:9], v[112:113], v[2:3]
	ds_read_b128 v[2:5], v32 offset:19200
	ds_read_b128 v[6:9], v32 offset:20800
	s_clause 0x1
	global_load_dwordx4 v[124:127], v[26:27], off offset:192
	global_load_dwordx4 v[132:135], v[26:27], off offset:208
	s_waitcnt vmcnt(2) lgkmcnt(1)
	v_mul_f64 v[100:101], v[4:5], v[130:131]
	v_fma_f64 v[10:11], v[10:11], 2.0, -v[138:139]
	v_add_f64 v[140:141], v[12:13], -v[98:99]
	v_fma_f64 v[100:101], v[2:3], v[128:129], -v[100:101]
	v_mul_f64 v[2:3], v[2:3], v[130:131]
	v_fma_f64 v[12:13], v[12:13], 2.0, -v[140:141]
	v_fma_f64 v[102:103], v[4:5], v[128:129], v[2:3]
	s_waitcnt vmcnt(1) lgkmcnt(0)
	v_mul_f64 v[2:3], v[8:9], v[126:127]
	v_fma_f64 v[104:105], v[6:7], v[124:125], -v[2:3]
	v_mul_f64 v[2:3], v[6:7], v[126:127]
	v_add_f64 v[104:105], v[22:23], -v[104:105]
	v_fma_f64 v[106:107], v[8:9], v[124:125], v[2:3]
	ds_read_b128 v[2:5], v32 offset:22400
	ds_read_b128 v[6:9], v32 offset:24000
	s_waitcnt vmcnt(0) lgkmcnt(1)
	v_mul_f64 v[120:121], v[4:5], v[134:135]
	v_fma_f64 v[22:23], v[22:23], 2.0, -v[104:105]
	v_add_f64 v[106:107], v[24:25], -v[106:107]
	v_add_f64 v[104:105], v[90:91], v[104:105]
	v_fma_f64 v[136:137], v[2:3], v[132:133], -v[120:121]
	global_load_dwordx4 v[120:123], v[26:27], off offset:224
	v_mul_f64 v[2:3], v[2:3], v[134:135]
	v_add_f64 v[26:27], v[16:17], -v[86:87]
	v_add_f64 v[86:87], v[20:21], -v[102:103]
	;; [unrolled: 1-line block ×3, first 2 shown]
	v_fma_f64 v[24:25], v[24:25], 2.0, -v[106:107]
	v_add_f64 v[22:23], v[28:29], -v[22:23]
	v_add_f64 v[106:107], v[88:89], -v[106:107]
	s_waitcnt vmcnt(0) lgkmcnt(0)
	s_barrier
	buffer_gl0_inv
	v_add_f64 v[136:137], v[76:77], -v[136:137]
	v_fma_f64 v[2:3], v[4:5], v[132:133], v[2:3]
	v_fma_f64 v[16:17], v[16:17], 2.0, -v[26:27]
	v_fma_f64 v[20:21], v[20:21], 2.0, -v[86:87]
	v_fma_f64 v[74:75], v[74:75], 2.0, -v[102:103]
	v_add_f64 v[24:25], v[30:31], -v[24:25]
	v_fma_f64 v[88:89], v[88:89], 2.0, -v[106:107]
	v_fma_f64 v[76:77], v[76:77], 2.0, -v[136:137]
	v_add_f64 v[136:137], v[102:103], v[136:137]
	v_add_f64 v[2:3], v[78:79], -v[2:3]
	v_add_f64 v[20:21], v[16:17], -v[20:21]
	v_fma_f64 v[78:79], v[78:79], 2.0, -v[2:3]
	v_fma_f64 v[16:17], v[16:17], 2.0, -v[20:21]
	v_add_f64 v[78:79], v[74:75], -v[78:79]
	v_mul_f64 v[4:5], v[8:9], v[122:123]
	v_fma_f64 v[4:5], v[6:7], v[120:121], -v[4:5]
	v_mul_f64 v[6:7], v[6:7], v[122:123]
	v_add_f64 v[4:5], v[80:81], -v[4:5]
	v_fma_f64 v[6:7], v[8:9], v[120:121], v[6:7]
	v_add_f64 v[8:9], v[14:15], -v[84:85]
	v_add_f64 v[84:85], v[18:19], -v[100:101]
	v_add_f64 v[100:101], v[72:73], -v[92:93]
	v_fma_f64 v[80:81], v[80:81], 2.0, -v[4:5]
	v_add_f64 v[6:7], v[82:83], -v[6:7]
	v_fma_f64 v[14:15], v[14:15], 2.0, -v[8:9]
	v_fma_f64 v[18:19], v[18:19], 2.0, -v[84:85]
	;; [unrolled: 1-line block ×3, first 2 shown]
	v_add_f64 v[86:87], v[8:9], -v[86:87]
	v_add_f64 v[2:3], v[100:101], -v[2:3]
	v_add_f64 v[84:85], v[26:27], v[84:85]
	v_add_f64 v[4:5], v[140:141], v[4:5]
	v_add_f64 v[80:81], v[10:11], -v[80:81]
	v_fma_f64 v[82:83], v[82:83], 2.0, -v[6:7]
	v_add_f64 v[6:7], v[138:139], -v[6:7]
	v_add_f64 v[18:19], v[14:15], -v[18:19]
	;; [unrolled: 1-line block ×3, first 2 shown]
	v_fma_f64 v[8:9], v[8:9], 2.0, -v[86:87]
	v_fma_f64 v[26:27], v[26:27], 2.0, -v[84:85]
	v_add_f64 v[98:99], v[24:25], v[80:81]
	v_add_f64 v[82:83], v[12:13], -v[82:83]
	v_fma_f64 v[10:11], v[10:11], 2.0, -v[80:81]
	v_add_f64 v[142:143], v[18:19], -v[78:79]
	v_add_f64 v[144:145], v[20:21], v[76:77]
	v_fma_f64 v[14:15], v[14:15], 2.0, -v[18:19]
	v_add_f64 v[96:97], v[22:23], -v[82:83]
	v_fma_f64 v[12:13], v[12:13], 2.0, -v[82:83]
	v_fma_f64 v[146:147], v[18:19], 2.0, -v[142:143]
	v_fma_f64 v[94:95], v[98:99], s[4:5], v[144:145]
	v_fma_f64 v[152:153], v[20:21], 2.0, -v[144:145]
	v_fma_f64 v[18:19], v[28:29], 2.0, -v[22:23]
	;; [unrolled: 1-line block ×3, first 2 shown]
	v_fma_f64 v[92:93], v[96:97], s[4:5], v[142:143]
	v_fma_f64 v[94:95], v[96:97], s[4:5], v[94:95]
	v_fma_f64 v[96:97], v[22:23], 2.0, -v[96:97]
	v_mov_b32_e32 v22, 0xa0
	v_add_f64 v[12:13], v[20:21], -v[12:13]
	v_add_f64 v[10:11], v[18:19], -v[10:11]
	v_mul_u32_u24_sdwa v0, v0, v22 dst_sel:DWORD dst_unused:UNUSED_PAD src0_sel:WORD_0 src1_sel:DWORD
	v_fma_f64 v[92:93], v[98:99], s[0:1], v[92:93]
	v_fma_f64 v[98:99], v[24:25], 2.0, -v[98:99]
	v_or_b32_e32 v24, v0, v1
	v_fma_f64 v[154:155], v[96:97], s[0:1], v[146:147]
	v_lshl_add_u32 v34, v24, 4, v37
	v_fma_f64 v[156:157], v[98:99], s[0:1], v[152:153]
	v_fma_f64 v[184:185], v[98:99], s[0:1], v[154:155]
	;; [unrolled: 1-line block ×10, first 2 shown]
	v_fma_f64 v[6:7], v[138:139], 2.0, -v[6:7]
	v_fma_f64 v[2:3], v[100:101], 2.0, -v[2:3]
	v_fma_f64 v[160:161], v[98:99], s[20:21], v[156:157]
	v_fma_f64 v[96:97], v[4:5], s[0:1], v[96:97]
	v_fma_f64 v[4:5], v[140:141], 2.0, -v[4:5]
	v_fma_f64 v[162:163], v[84:85], 2.0, -v[156:157]
	;; [unrolled: 1-line block ×3, first 2 shown]
	v_fma_f64 v[194:195], v[96:97], s[18:19], v[160:161]
	v_fma_f64 v[160:161], v[86:87], 2.0, -v[154:155]
	v_fma_f64 v[86:87], v[90:91], 2.0, -v[104:105]
	v_fma_f64 v[90:91], v[6:7], s[0:1], v[88:89]
	v_fma_f64 v[158:159], v[96:97], s[20:21], v[154:155]
	;; [unrolled: 1-line block ×5, first 2 shown]
	v_fma_f64 v[158:159], v[106:107], 2.0, -v[96:97]
	v_fma_f64 v[96:97], v[104:105], 2.0, -v[98:99]
	v_fma_f64 v[4:5], v[6:7], s[4:5], v[4:5]
	v_fma_f64 v[6:7], v[84:85], s[0:1], v[26:27]
	;; [unrolled: 1-line block ×6, first 2 shown]
	v_fma_f64 v[6:7], v[88:89], 2.0, -v[90:91]
	v_fma_f64 v[96:97], v[96:97], s[12:13], v[98:99]
	v_fma_f64 v[98:99], v[158:159], s[20:21], v[164:165]
	v_fma_f64 v[26:27], v[26:27], 2.0, -v[136:137]
	v_fma_f64 v[84:85], v[84:85], s[0:1], v[2:3]
	v_fma_f64 v[2:3], v[4:5], s[18:19], v[136:137]
	;; [unrolled: 1-line block ×4, first 2 shown]
	v_fma_f64 v[2:3], v[86:87], 2.0, -v[4:5]
	v_fma_f64 v[86:87], v[8:9], 2.0, -v[84:85]
	v_fma_f64 v[100:101], v[4:5], s[12:13], v[88:89]
	v_fma_f64 v[8:9], v[2:3], s[12:13], v[26:27]
	;; [unrolled: 1-line block ×5, first 2 shown]
	v_fma_f64 v[6:7], v[72:73], 2.0, -v[76:77]
	v_fma_f64 v[8:9], v[74:75], 2.0, -v[78:79]
	v_add_f64 v[0:1], v[14:15], -v[6:7]
	v_add_f64 v[22:23], v[16:17], -v[8:9]
	;; [unrolled: 1-line block ×3, first 2 shown]
	v_add_f64 v[106:107], v[22:23], v[10:11]
	v_fma_f64 v[6:7], v[0:1], 2.0, -v[104:105]
	v_fma_f64 v[8:9], v[22:23], 2.0, -v[106:107]
	;; [unrolled: 1-line block ×4, first 2 shown]
	ds_write_b128 v34, v[6:9] offset:640
	v_fma_f64 v[6:7], v[142:143], 2.0, -v[92:93]
	v_fma_f64 v[8:9], v[144:145], 2.0, -v[94:95]
	ds_write_b128 v34, v[6:9] offset:960
	v_fma_f64 v[6:7], v[154:155], 2.0, -v[192:193]
	v_fma_f64 v[8:9], v[156:157], 2.0, -v[194:195]
	;; [unrolled: 3-line block ×3, first 2 shown]
	v_add_f64 v[6:7], v[0:1], -v[6:7]
	v_add_f64 v[8:9], v[14:15], -v[8:9]
	v_fma_f64 v[10:11], v[0:1], 2.0, -v[6:7]
	v_fma_f64 v[12:13], v[14:15], 2.0, -v[8:9]
	ds_write_b128 v34, v[6:9] offset:1280
	ds_write_b128 v34, v[10:13]
	v_fma_f64 v[6:7], v[146:147], 2.0, -v[184:185]
	v_fma_f64 v[8:9], v[152:153], 2.0, -v[186:187]
	ds_write_b128 v34, v[6:9] offset:320
	v_fma_f64 v[6:7], v[160:161], 2.0, -v[96:97]
	v_fma_f64 v[8:9], v[162:163], 2.0, -v[98:99]
	ds_write_b128 v34, v[6:9] offset:480
	;; [unrolled: 3-line block ×4, first 2 shown]
	ds_write_b128 v34, v[6:9] offset:160
	ds_write_b128 v34, v[104:107] offset:1920
	;; [unrolled: 1-line block ×7, first 2 shown]
	s_waitcnt lgkmcnt(0)
	s_barrier
	buffer_gl0_inv
	ds_read_b128 v[188:191], v32
	ds_read_b128 v[164:167], v32 offset:2560
	ds_read_b128 v[160:163], v32 offset:5120
	;; [unrolled: 1-line block ×9, first 2 shown]
	s_and_saveexec_b32 s0, vcc_lo
	s_cbranch_execz .LBB0_9
; %bb.8:
	ds_read_b128 v[184:187], v32 offset:1600
	ds_read_b128 v[96:99], v32 offset:4160
	;; [unrolled: 1-line block ×10, first 2 shown]
.LBB0_9:
	s_or_b32 exec_lo, exec_lo, s0
	buffer_load_dword v6, off, s[24:27], 0  ; 4-byte Folded Reload
	s_mov_b32 s12, 0x134454ff
	s_mov_b32 s13, 0x3fee6f0e
	;; [unrolled: 1-line block ×8, first 2 shown]
	s_waitcnt vmcnt(0)
	v_mad_u64_u32 v[0:1], null, 0x90, v6, s[2:3]
	v_add_co_u32 v2, s0, 0x960, v0
	v_add_co_ci_u32_e64 v3, s0, 0, v1, s0
	v_add_co_u32 v4, s0, 0x800, v0
	v_add_co_ci_u32_e64 v5, s0, 0, v1, s0
	v_add_co_u32 v0, s0, 0x9a0, v0
	s_clause 0x3
	global_load_dwordx4 v[88:91], v[4:5], off offset:352
	global_load_dwordx4 v[136:139], v[2:3], off offset:48
	;; [unrolled: 1-line block ×4, first 2 shown]
	v_add_co_ci_u32_e64 v1, s0, 0, v1, s0
	s_waitcnt vmcnt(3) lgkmcnt(8)
	v_mul_f64 v[2:3], v[166:167], v[90:91]
	v_fma_f64 v[226:227], v[164:165], v[88:89], -v[2:3]
	v_mul_f64 v[2:3], v[164:165], v[90:91]
	v_fma_f64 v[8:9], v[166:167], v[88:89], v[2:3]
	s_waitcnt vmcnt(0) lgkmcnt(7)
	v_mul_f64 v[2:3], v[162:163], v[146:147]
	v_fma_f64 v[234:235], v[160:161], v[144:145], -v[2:3]
	v_mul_f64 v[2:3], v[160:161], v[146:147]
	v_fma_f64 v[228:229], v[162:163], v[144:145], v[2:3]
	s_waitcnt lgkmcnt(6)
	v_mul_f64 v[2:3], v[158:159], v[142:143]
	v_fma_f64 v[212:213], v[156:157], v[140:141], -v[2:3]
	v_mul_f64 v[2:3], v[156:157], v[142:143]
	v_fma_f64 v[10:11], v[158:159], v[140:141], v[2:3]
	s_waitcnt lgkmcnt(5)
	v_mul_f64 v[2:3], v[154:155], v[138:139]
	v_fma_f64 v[238:239], v[152:153], v[136:137], -v[2:3]
	v_mul_f64 v[2:3], v[152:153], v[138:139]
	v_add_f64 v[26:27], v[234:235], -v[238:239]
	v_fma_f64 v[230:231], v[154:155], v[136:137], v[2:3]
	s_clause 0x3
	global_load_dwordx4 v[152:155], v[4:5], off offset:416
	global_load_dwordx4 v[156:159], v[0:1], off offset:48
	;; [unrolled: 1-line block ×4, first 2 shown]
	v_add_f64 v[30:31], v[238:239], -v[234:235]
	s_waitcnt vmcnt(3) lgkmcnt(4)
	v_mul_f64 v[0:1], v[170:171], v[154:155]
	v_fma_f64 v[218:219], v[168:169], v[152:153], -v[0:1]
	v_mul_f64 v[0:1], v[168:169], v[154:155]
	v_fma_f64 v[214:215], v[170:171], v[152:153], v[0:1]
	global_load_dwordx4 v[168:171], v[4:5], off offset:480
	s_waitcnt vmcnt(1) lgkmcnt(3)
	v_mul_f64 v[0:1], v[86:87], v[166:167]
	v_fma_f64 v[12:13], v[84:85], v[164:165], -v[0:1]
	v_mul_f64 v[0:1], v[84:85], v[166:167]
	v_fma_f64 v[232:233], v[86:87], v[164:165], v[0:1]
	s_waitcnt lgkmcnt(2)
	v_mul_f64 v[0:1], v[82:83], v[162:163]
	v_fma_f64 v[220:221], v[80:81], v[160:161], -v[0:1]
	v_mul_f64 v[0:1], v[80:81], v[162:163]
	v_fma_f64 v[216:217], v[82:83], v[160:161], v[0:1]
	s_waitcnt lgkmcnt(1)
	v_mul_f64 v[0:1], v[78:79], v[158:159]
	v_fma_f64 v[14:15], v[76:77], v[156:157], -v[0:1]
	v_mul_f64 v[0:1], v[76:77], v[158:159]
	v_add_f64 v[28:29], v[14:15], -v[12:13]
	v_fma_f64 v[236:237], v[78:79], v[156:157], v[0:1]
	v_add_f64 v[26:27], v[26:27], v[28:29]
	s_waitcnt vmcnt(0) lgkmcnt(0)
	v_mul_f64 v[0:1], v[74:75], v[170:171]
	v_fma_f64 v[224:225], v[72:73], v[168:169], -v[0:1]
	v_mul_f64 v[0:1], v[72:73], v[170:171]
	v_fma_f64 v[222:223], v[74:75], v[168:169], v[0:1]
	v_subrev_nc_u32_e32 v0, 60, v6
	v_cndmask_b32_e32 v0, v0, v196, vcc_lo
	v_mul_hi_i32_i24_e32 v1, 0x90, v0
	v_mul_i32_i24_e32 v0, 0x90, v0
	v_add_co_u32 v2, s0, s2, v0
	v_add_co_ci_u32_e64 v3, s0, s3, v1, s0
	s_mov_b32 s3, 0xbfee6f0e
	v_add_co_u32 v0, s0, 0x960, v2
	v_add_co_ci_u32_e64 v1, s0, 0, v3, s0
	v_add_co_u32 v16, s0, 0x800, v2
	v_add_co_ci_u32_e64 v17, s0, 0, v3, s0
	s_clause 0x3
	global_load_dwordx4 v[4:7], v[16:17], off offset:352
	global_load_dwordx4 v[18:21], v[0:1], off offset:48
	;; [unrolled: 1-line block ×4, first 2 shown]
	s_mov_b32 s2, s12
	s_waitcnt vmcnt(3)
	v_mul_f64 v[0:1], v[98:99], v[6:7]
	v_fma_f64 v[202:203], v[96:97], v[4:5], -v[0:1]
	v_mul_f64 v[0:1], v[96:97], v[6:7]
	buffer_store_dword v4, off, s[24:27], 0 offset:220 ; 4-byte Folded Spill
	buffer_store_dword v5, off, s[24:27], 0 offset:224 ; 4-byte Folded Spill
	;; [unrolled: 1-line block ×4, first 2 shown]
	v_fma_f64 v[196:197], v[98:99], v[4:5], v[0:1]
	s_waitcnt vmcnt(0)
	v_mul_f64 v[0:1], v[106:107], v[86:87]
	v_fma_f64 v[210:211], v[104:105], v[84:85], -v[0:1]
	v_mul_f64 v[0:1], v[104:105], v[86:87]
	v_fma_f64 v[206:207], v[106:107], v[84:85], v[0:1]
	v_mul_f64 v[0:1], v[102:103], v[24:25]
	v_fma_f64 v[200:201], v[100:101], v[22:23], -v[0:1]
	v_mul_f64 v[0:1], v[100:101], v[24:25]
	buffer_store_dword v22, off, s[24:27], 0 offset:252 ; 4-byte Folded Spill
	buffer_store_dword v23, off, s[24:27], 0 offset:256 ; 4-byte Folded Spill
	;; [unrolled: 1-line block ×4, first 2 shown]
	v_add_f64 v[24:25], v[230:231], -v[232:233]
	v_fma_f64 v[198:199], v[102:103], v[22:23], v[0:1]
	v_mul_f64 v[0:1], v[94:95], v[20:21]
	v_add_f64 v[22:23], v[228:229], -v[236:237]
	v_fma_f64 v[254:255], v[92:93], v[18:19], -v[0:1]
	v_mul_f64 v[0:1], v[92:93], v[20:21]
	buffer_store_dword v18, off, s[24:27], 0 offset:236 ; 4-byte Folded Spill
	buffer_store_dword v19, off, s[24:27], 0 offset:240 ; 4-byte Folded Spill
	;; [unrolled: 1-line block ×4, first 2 shown]
	v_fma_f64 v[208:209], v[94:95], v[18:19], v[0:1]
	v_add_co_u32 v0, s0, 0x9a0, v2
	v_add_co_ci_u32_e64 v1, s0, 0, v3, s0
	s_clause 0x3
	global_load_dwordx4 v[100:103], v[16:17], off offset:416
	global_load_dwordx4 v[92:95], v[0:1], off offset:48
	;; [unrolled: 1-line block ×4, first 2 shown]
	v_add_f64 v[18:19], v[238:239], v[12:13]
	s_mov_b32 s0, 0x372fe950
	s_mov_b32 s1, 0x3fd3c6ef
	v_fma_f64 v[20:21], v[18:19], -0.5, v[188:189]
	v_fma_f64 v[18:19], v[22:23], s[12:13], v[20:21]
	v_fma_f64 v[20:21], v[22:23], s[2:3], v[20:21]
	;; [unrolled: 1-line block ×6, first 2 shown]
	v_add_f64 v[26:27], v[234:235], v[14:15]
	v_fma_f64 v[26:27], v[26:27], -0.5, v[188:189]
	v_fma_f64 v[28:29], v[24:25], s[2:3], v[26:27]
	v_fma_f64 v[24:25], v[24:25], s[12:13], v[26:27]
	v_add_f64 v[26:27], v[230:231], v[232:233]
	v_fma_f64 v[28:29], v[22:23], s[14:15], v[28:29]
	v_fma_f64 v[22:23], v[22:23], s[4:5], v[24:25]
	v_fma_f64 v[26:27], v[26:27], -0.5, v[190:191]
	v_add_f64 v[24:25], v[190:191], v[228:229]
	v_add_f64 v[24:25], v[24:25], v[230:231]
	;; [unrolled: 1-line block ×4, first 2 shown]
	s_waitcnt vmcnt(3)
	v_mul_f64 v[0:1], v[194:195], v[102:103]
	s_waitcnt vmcnt(1)
	v_mul_f64 v[2:3], v[178:179], v[106:107]
	v_fma_f64 v[204:205], v[192:193], v[100:101], -v[0:1]
	v_mul_f64 v[0:1], v[192:193], v[102:103]
	v_fma_f64 v[192:193], v[194:195], v[100:101], v[0:1]
	s_waitcnt vmcnt(0)
	v_mul_f64 v[0:1], v[150:151], v[98:99]
	v_fma_f64 v[194:195], v[176:177], v[104:105], -v[2:3]
	v_mul_f64 v[2:3], v[176:177], v[106:107]
	v_fma_f64 v[4:5], v[148:149], v[96:97], -v[0:1]
	v_mul_f64 v[0:1], v[148:149], v[98:99]
	v_fma_f64 v[176:177], v[178:179], v[104:105], v[2:3]
	v_mul_f64 v[2:3], v[182:183], v[94:95]
	v_fma_f64 v[0:1], v[150:151], v[96:97], v[0:1]
	global_load_dwordx4 v[148:151], v[16:17], off offset:480
	v_fma_f64 v[6:7], v[180:181], v[92:93], -v[2:3]
	v_mul_f64 v[2:3], v[180:181], v[94:95]
	v_add_f64 v[180:181], v[236:237], -v[232:233]
	v_fma_f64 v[2:3], v[182:183], v[92:93], v[2:3]
	v_add_f64 v[182:183], v[230:231], -v[228:229]
	s_waitcnt vmcnt(0)
	v_mul_f64 v[16:17], v[174:175], v[150:151]
	v_fma_f64 v[178:179], v[172:173], v[148:149], -v[16:17]
	v_mul_f64 v[16:17], v[172:173], v[150:151]
	v_fma_f64 v[172:173], v[174:175], v[148:149], v[16:17]
	v_add_f64 v[16:17], v[188:189], v[234:235]
	v_add_f64 v[174:175], v[12:13], -v[14:15]
	v_add_f64 v[188:189], v[232:233], -v[236:237]
	;; [unrolled: 1-line block ×3, first 2 shown]
	v_add_f64 v[16:17], v[16:17], v[238:239]
	v_add_f64 v[30:31], v[30:31], v[174:175]
	v_add_f64 v[174:175], v[228:229], -v[230:231]
	v_add_f64 v[182:183], v[182:183], v[188:189]
	v_add_f64 v[230:231], v[224:225], -v[220:221]
	v_add_f64 v[16:17], v[16:17], v[12:13]
	v_fma_f64 v[28:29], v[30:31], s[0:1], v[28:29]
	v_fma_f64 v[22:23], v[30:31], s[0:1], v[22:23]
	v_add_f64 v[12:13], v[238:239], -v[12:13]
	v_add_f64 v[174:175], v[174:175], v[180:181]
	v_add_f64 v[16:17], v[16:17], v[14:15]
	v_add_f64 v[14:15], v[234:235], -v[14:15]
	v_fma_f64 v[30:31], v[14:15], s[2:3], v[26:27]
	v_fma_f64 v[26:27], v[14:15], s[12:13], v[26:27]
	;; [unrolled: 1-line block ×6, first 2 shown]
	v_add_f64 v[174:175], v[228:229], v[236:237]
	v_add_f64 v[228:229], v[212:213], -v[218:219]
	v_fma_f64 v[174:175], v[174:175], -0.5, v[190:191]
	v_add_f64 v[190:191], v[214:215], -v[216:217]
	v_add_f64 v[228:229], v[228:229], v[230:231]
	v_add_f64 v[230:231], v[218:219], -v[212:213]
	v_fma_f64 v[180:181], v[12:13], s[12:13], v[174:175]
	v_fma_f64 v[12:13], v[12:13], s[2:3], v[174:175]
	v_add_f64 v[174:175], v[218:219], v[220:221]
	v_add_f64 v[230:231], v[230:231], v[232:233]
	v_fma_f64 v[180:181], v[14:15], s[4:5], v[180:181]
	v_fma_f64 v[12:13], v[14:15], s[14:15], v[12:13]
	v_fma_f64 v[174:175], v[174:175], -0.5, v[226:227]
	v_add_f64 v[14:15], v[226:227], v[212:213]
	v_fma_f64 v[180:181], v[182:183], s[0:1], v[180:181]
	v_fma_f64 v[12:13], v[182:183], s[0:1], v[12:13]
	v_add_f64 v[182:183], v[10:11], -v[222:223]
	v_add_f64 v[14:15], v[14:15], v[218:219]
	v_add_f64 v[218:219], v[218:219], -v[220:221]
	v_fma_f64 v[188:189], v[182:183], s[12:13], v[174:175]
	v_fma_f64 v[174:175], v[182:183], s[2:3], v[174:175]
	v_add_f64 v[14:15], v[14:15], v[220:221]
	v_fma_f64 v[188:189], v[190:191], s[14:15], v[188:189]
	v_fma_f64 v[174:175], v[190:191], s[4:5], v[174:175]
	v_add_f64 v[14:15], v[14:15], v[224:225]
	;; [unrolled: 3-line block ×3, first 2 shown]
	v_add_f64 v[212:213], v[212:213], -v[224:225]
	v_add_f64 v[248:249], v[16:17], -v[14:15]
	v_fma_f64 v[226:227], v[228:229], -0.5, v[226:227]
	v_fma_f64 v[228:229], v[190:191], s[2:3], v[226:227]
	v_fma_f64 v[190:191], v[190:191], s[12:13], v[226:227]
	v_add_f64 v[226:227], v[214:215], v[216:217]
	v_fma_f64 v[228:229], v[182:183], s[14:15], v[228:229]
	v_fma_f64 v[182:183], v[182:183], s[4:5], v[190:191]
	v_fma_f64 v[226:227], v[226:227], -0.5, v[8:9]
	v_add_f64 v[190:191], v[8:9], v[10:11]
	v_fma_f64 v[232:233], v[230:231], s[0:1], v[228:229]
	v_add_f64 v[228:229], v[222:223], -v[216:217]
	v_fma_f64 v[224:225], v[212:213], s[2:3], v[226:227]
	v_add_f64 v[190:191], v[190:191], v[214:215]
	v_fma_f64 v[182:183], v[230:231], s[0:1], v[182:183]
	v_fma_f64 v[220:221], v[218:219], s[4:5], v[224:225]
	v_add_f64 v[224:225], v[10:11], -v[214:215]
	v_add_f64 v[190:191], v[190:191], v[216:217]
	v_add_f64 v[224:225], v[224:225], v[228:229]
	;; [unrolled: 1-line block ×3, first 2 shown]
	v_add_f64 v[14:15], v[206:207], -v[2:3]
	v_add_f64 v[16:17], v[210:211], -v[254:255]
	v_add_f64 v[190:191], v[190:191], v[222:223]
	v_fma_f64 v[234:235], v[224:225], s[0:1], v[220:221]
	v_fma_f64 v[220:221], v[212:213], s[12:13], v[226:227]
	v_add_f64 v[230:231], v[24:25], v[190:191]
	v_add_f64 v[250:251], v[24:25], -v[190:191]
	v_add_f64 v[24:25], v[4:5], -v[6:7]
	v_fma_f64 v[220:221], v[218:219], s[14:15], v[220:221]
	v_fma_f64 v[236:237], v[224:225], s[0:1], v[220:221]
	v_add_f64 v[220:221], v[10:11], v[222:223]
	v_add_f64 v[10:11], v[214:215], -v[10:11]
	v_add_f64 v[214:215], v[216:217], -v[222:223]
	v_fma_f64 v[8:9], v[220:221], -0.5, v[8:9]
	v_add_f64 v[10:11], v[10:11], v[214:215]
	v_fma_f64 v[220:221], v[218:219], s[12:13], v[8:9]
	v_fma_f64 v[8:9], v[218:219], s[2:3], v[8:9]
	v_mul_f64 v[218:219], v[232:233], s[2:3]
	v_fma_f64 v[220:221], v[212:213], s[4:5], v[220:221]
	v_fma_f64 v[8:9], v[212:213], s[14:15], v[8:9]
	;; [unrolled: 1-line block ×4, first 2 shown]
	v_mul_f64 v[10:11], v[234:235], s[14:15]
	v_mul_f64 v[212:213], v[214:215], s[12:13]
	v_fma_f64 v[10:11], v[188:189], s[18:19], v[10:11]
	v_mul_f64 v[188:189], v[188:189], s[4:5]
	v_fma_f64 v[238:239], v[232:233], s[0:1], v[212:213]
	v_mul_f64 v[212:213], v[182:183], s[0:1]
	v_add_f64 v[224:225], v[18:19], v[10:11]
	v_add_f64 v[244:245], v[18:19], -v[10:11]
	v_add_f64 v[10:11], v[254:255], v[4:5]
	v_fma_f64 v[188:189], v[234:235], s[18:19], v[188:189]
	v_fma_f64 v[234:235], v[214:215], s[0:1], v[218:219]
	v_add_f64 v[18:19], v[208:209], -v[0:1]
	v_add_f64 v[220:221], v[28:29], v[238:239]
	v_fma_f64 v[242:243], v[8:9], s[12:13], -v[212:213]
	v_mul_f64 v[8:9], v[8:9], s[0:1]
	v_mul_f64 v[212:213], v[174:175], s[18:19]
	v_add_f64 v[240:241], v[28:29], -v[238:239]
	v_add_f64 v[226:227], v[30:31], v[188:189]
	v_add_f64 v[222:223], v[180:181], v[234:235]
	v_add_f64 v[28:29], v[200:201], -v[204:205]
	v_add_f64 v[216:217], v[22:23], v[242:243]
	v_fma_f64 v[8:9], v[182:183], s[2:3], -v[8:9]
	v_fma_f64 v[246:247], v[236:237], s[14:15], -v[212:213]
	v_mul_f64 v[182:183], v[236:237], s[18:19]
	v_add_f64 v[236:237], v[22:23], -v[242:243]
	v_add_f64 v[22:23], v[254:255], -v[210:211]
	;; [unrolled: 1-line block ×4, first 2 shown]
	v_add_f64 v[218:219], v[12:13], v[8:9]
	v_add_f64 v[238:239], v[12:13], -v[8:9]
	v_fma_f64 v[12:13], v[10:11], -0.5, v[184:185]
	v_add_f64 v[212:213], v[20:21], v[246:247]
	v_add_f64 v[232:233], v[20:21], -v[246:247]
	v_add_f64 v[20:21], v[6:7], -v[4:5]
	v_add_f64 v[8:9], v[184:185], v[210:211]
	v_add_f64 v[22:23], v[22:23], v[24:25]
	v_fma_f64 v[174:175], v[174:175], s[4:5], -v[182:183]
	v_add_f64 v[24:25], v[254:255], -v[4:5]
	v_add_f64 v[246:247], v[30:31], -v[188:189]
	;; [unrolled: 1-line block ×4, first 2 shown]
	v_fma_f64 v[10:11], v[14:15], s[12:13], v[12:13]
	v_fma_f64 v[12:13], v[14:15], s[2:3], v[12:13]
	v_add_f64 v[16:17], v[16:17], v[20:21]
	v_add_f64 v[8:9], v[8:9], v[254:255]
	;; [unrolled: 1-line block ×3, first 2 shown]
	v_add_f64 v[234:235], v[26:27], -v[174:175]
	v_add_f64 v[26:27], v[2:3], -v[0:1]
	v_add_f64 v[28:29], v[28:29], v[30:31]
	v_add_f64 v[174:175], v[204:205], -v[200:201]
	ds_write_b128 v32, v[228:231]
	ds_write_b128 v32, v[224:227] offset:2560
	ds_write_b128 v32, v[220:223] offset:5120
	;; [unrolled: 1-line block ×9, first 2 shown]
	v_fma_f64 v[10:11], v[18:19], s[14:15], v[10:11]
	v_fma_f64 v[12:13], v[18:19], s[4:5], v[12:13]
	v_add_f64 v[8:9], v[8:9], v[4:5]
	v_add_f64 v[174:175], v[174:175], v[180:181]
	v_add_f64 v[180:181], v[204:205], -v[194:195]
	v_fma_f64 v[10:11], v[16:17], s[0:1], v[10:11]
	v_fma_f64 v[12:13], v[16:17], s[0:1], v[12:13]
	v_add_f64 v[16:17], v[210:211], v[6:7]
	v_add_f64 v[8:9], v[8:9], v[6:7]
	v_add_f64 v[6:7], v[210:211], -v[6:7]
	v_fma_f64 v[20:21], v[16:17], -0.5, v[184:185]
	v_add_f64 v[184:185], v[172:173], -v[176:177]
	v_fma_f64 v[16:17], v[18:19], s[2:3], v[20:21]
	v_fma_f64 v[18:19], v[18:19], s[12:13], v[20:21]
	v_add_f64 v[20:21], v[208:209], v[0:1]
	v_add_f64 v[182:183], v[182:183], v[184:185]
	v_fma_f64 v[16:17], v[14:15], s[14:15], v[16:17]
	v_fma_f64 v[14:15], v[14:15], s[4:5], v[18:19]
	v_fma_f64 v[20:21], v[20:21], -0.5, v[186:187]
	v_fma_f64 v[16:17], v[22:23], s[0:1], v[16:17]
	v_fma_f64 v[18:19], v[22:23], s[0:1], v[14:15]
	;; [unrolled: 1-line block ×4, first 2 shown]
	v_add_f64 v[14:15], v[186:187], v[206:207]
	v_fma_f64 v[4:5], v[24:25], s[4:5], v[22:23]
	v_add_f64 v[22:23], v[206:207], -v[208:209]
	v_fma_f64 v[20:21], v[24:25], s[14:15], v[20:21]
	v_add_f64 v[14:15], v[14:15], v[208:209]
	v_add_f64 v[22:23], v[22:23], v[26:27]
	v_add_f64 v[26:27], v[208:209], -v[206:207]
	v_add_f64 v[14:15], v[14:15], v[0:1]
	v_add_f64 v[0:1], v[0:1], -v[2:3]
	v_fma_f64 v[210:211], v[22:23], s[0:1], v[20:21]
	v_add_f64 v[20:21], v[206:207], v[2:3]
	v_fma_f64 v[4:5], v[22:23], s[0:1], v[4:5]
	v_add_f64 v[0:1], v[26:27], v[0:1]
	v_add_f64 v[14:15], v[14:15], v[2:3]
	v_add_f64 v[26:27], v[192:193], -v[176:177]
	v_fma_f64 v[20:21], v[20:21], -0.5, v[186:187]
	v_add_f64 v[186:187], v[192:193], -v[198:199]
	v_fma_f64 v[22:23], v[24:25], s[12:13], v[20:21]
	v_fma_f64 v[20:21], v[24:25], s[2:3], v[20:21]
	;; [unrolled: 1-line block ×4, first 2 shown]
	v_add_f64 v[20:21], v[198:199], -v[172:173]
	v_fma_f64 v[2:3], v[0:1], s[0:1], v[22:23]
	v_fma_f64 v[0:1], v[0:1], s[0:1], v[6:7]
	v_add_f64 v[6:7], v[202:203], v[200:201]
	v_add_f64 v[6:7], v[6:7], v[204:205]
	;; [unrolled: 1-line block ×5, first 2 shown]
	v_fma_f64 v[6:7], v[6:7], -0.5, v[202:203]
	v_fma_f64 v[22:23], v[20:21], s[12:13], v[6:7]
	v_fma_f64 v[6:7], v[20:21], s[2:3], v[6:7]
	;; [unrolled: 1-line block ×6, first 2 shown]
	v_add_f64 v[28:29], v[200:201], v[178:179]
	v_fma_f64 v[28:29], v[28:29], -0.5, v[202:203]
	v_fma_f64 v[30:31], v[26:27], s[2:3], v[28:29]
	v_fma_f64 v[26:27], v[26:27], s[12:13], v[28:29]
	v_add_f64 v[28:29], v[192:193], v[176:177]
	v_fma_f64 v[30:31], v[20:21], s[14:15], v[30:31]
	v_fma_f64 v[20:21], v[20:21], s[4:5], v[26:27]
	v_fma_f64 v[28:29], v[28:29], -0.5, v[196:197]
	v_add_f64 v[26:27], v[196:197], v[198:199]
	v_fma_f64 v[30:31], v[174:175], s[0:1], v[30:31]
	v_fma_f64 v[20:21], v[174:175], s[0:1], v[20:21]
	v_add_f64 v[174:175], v[200:201], -v[178:179]
	v_add_f64 v[26:27], v[26:27], v[192:193]
	v_add_f64 v[192:193], v[8:9], -v[24:25]
	v_fma_f64 v[178:179], v[174:175], s[2:3], v[28:29]
	v_fma_f64 v[28:29], v[174:175], s[12:13], v[28:29]
	v_add_f64 v[26:27], v[26:27], v[176:177]
	v_fma_f64 v[178:179], v[180:181], s[4:5], v[178:179]
	v_fma_f64 v[28:29], v[180:181], s[14:15], v[28:29]
	v_add_f64 v[26:27], v[26:27], v[172:173]
	;; [unrolled: 3-line block ×3, first 2 shown]
	v_add_f64 v[172:173], v[176:177], -v[172:173]
	v_fma_f64 v[182:183], v[182:183], -0.5, v[196:197]
	v_add_f64 v[172:173], v[186:187], v[172:173]
	v_fma_f64 v[184:185], v[180:181], s[12:13], v[182:183]
	v_fma_f64 v[176:177], v[180:181], s[2:3], v[182:183]
	;; [unrolled: 1-line block ×6, first 2 shown]
	v_mul_f64 v[174:175], v[178:179], s[14:15]
	v_add_f64 v[172:173], v[8:9], v[24:25]
	v_fma_f64 v[194:195], v[22:23], s[18:19], v[174:175]
	v_mul_f64 v[174:175], v[186:187], s[12:13]
	v_mul_f64 v[22:23], v[22:23], s[4:5]
	v_add_f64 v[176:177], v[10:11], v[194:195]
	v_fma_f64 v[198:199], v[30:31], s[0:1], v[174:175]
	v_mul_f64 v[174:175], v[20:21], s[0:1]
	v_fma_f64 v[254:255], v[178:179], s[18:19], v[22:23]
	v_mul_f64 v[22:23], v[30:31], s[2:3]
	v_mul_f64 v[30:31], v[190:191], s[0:1]
	v_add_f64 v[196:197], v[10:11], -v[194:195]
	v_add_f64 v[194:195], v[14:15], -v[26:27]
	v_add_f64 v[180:181], v[16:17], v[198:199]
	v_fma_f64 v[202:203], v[190:191], s[12:13], -v[174:175]
	v_mul_f64 v[174:175], v[6:7], s[18:19]
	v_fma_f64 v[22:23], v[186:187], s[0:1], v[22:23]
	v_fma_f64 v[20:21], v[20:21], s[2:3], -v[30:31]
	v_add_f64 v[178:179], v[4:5], v[254:255]
	v_add_f64 v[200:201], v[16:17], -v[198:199]
	v_add_f64 v[198:199], v[4:5], -v[254:255]
	v_add_f64 v[184:185], v[18:19], v[202:203]
	v_fma_f64 v[206:207], v[28:29], s[14:15], -v[174:175]
	v_mul_f64 v[28:29], v[28:29], s[18:19]
	v_add_f64 v[174:175], v[14:15], v[26:27]
	v_add_f64 v[182:183], v[2:3], v[22:23]
	;; [unrolled: 1-line block ×3, first 2 shown]
	v_add_f64 v[204:205], v[18:19], -v[202:203]
	v_add_f64 v[202:203], v[2:3], -v[22:23]
	v_add_f64 v[188:189], v[12:13], v[206:207]
	v_fma_f64 v[6:7], v[6:7], s[4:5], -v[28:29]
	v_add_f64 v[208:209], v[12:13], -v[206:207]
	v_add_f64 v[206:207], v[0:1], -v[20:21]
	v_add_f64 v[190:191], v[210:211], v[6:7]
	v_add_f64 v[210:211], v[210:211], -v[6:7]
	s_and_saveexec_b32 s0, vcc_lo
	s_cbranch_execz .LBB0_11
; %bb.10:
	ds_write_b128 v32, v[172:175] offset:1600
	ds_write_b128 v32, v[176:179] offset:4160
	;; [unrolled: 1-line block ×10, first 2 shown]
.LBB0_11:
	s_or_b32 exec_lo, exec_lo, s0
	s_waitcnt lgkmcnt(0)
	s_waitcnt_vscnt null, 0x0
	s_barrier
	buffer_gl0_inv
	buffer_load_dword v0, off, s[24:27], 0 offset:212 ; 4-byte Folded Reload
	s_add_u32 s0, s16, 0x6400
	s_addc_u32 s1, s17, 0
	s_waitcnt vmcnt(0)
	s_clause 0x1
	global_load_dwordx4 v[10:13], v0, s[0:1]
	global_load_dwordx4 v[14:17], v39, s[0:1]
	buffer_load_dword v0, off, s[24:27], 0  ; 4-byte Folded Reload
	s_waitcnt vmcnt(0)
	v_lshlrev_b32_e32 v0, 4, v0
	global_load_dwordx4 v[18:21], v0, s[0:1]
	v_add_co_u32 v0, s0, s0, v0
	v_add_co_ci_u32_e64 v1, null, s1, 0, s0
	v_add_co_u32 v2, s0, 0x800, v0
	v_add_co_ci_u32_e64 v3, s0, 0, v1, s0
	v_add_co_u32 v8, s0, 0x1000, v0
	v_add_co_ci_u32_e64 v9, s0, 0, v1, s0
	global_load_dwordx4 v[22:25], v[2:3], off offset:512
	v_add_co_u32 v6, s0, 0x1800, v0
	global_load_dwordx4 v[26:29], v[8:9], off offset:1024
	v_add_co_ci_u32_e64 v7, s0, 0, v1, s0
	global_load_dwordx4 v[212:215], v[6:7], off offset:1536
	v_add_co_u32 v2, s0, 0x3000, v0
	v_add_co_ci_u32_e64 v3, s0, 0, v1, s0
	v_add_co_u32 v4, s0, 0x3800, v0
	v_add_co_ci_u32_e64 v5, s0, 0, v1, s0
	s_clause 0x1
	global_load_dwordx4 v[216:219], v[2:3], off offset:512
	global_load_dwordx4 v[220:223], v[4:5], off offset:1024
	v_add_co_u32 v2, s0, 0x4000, v0
	v_add_co_ci_u32_e64 v3, s0, 0, v1, s0
	v_add_co_u32 v30, s0, 0x5800, v0
	v_add_co_ci_u32_e64 v31, s0, 0, v1, s0
	s_clause 0x1
	global_load_dwordx4 v[224:227], v[2:3], off offset:1536
	global_load_dwordx4 v[228:231], v[30:31], off offset:512
	ds_read_b128 v[232:235], v32 offset:10240
	ds_read_b128 v[236:239], v32 offset:12800
	;; [unrolled: 1-line block ×4, first 2 shown]
	s_waitcnt lgkmcnt(3)
	v_mul_f64 v[30:31], v[234:235], v[12:13]
	v_mul_f64 v[12:13], v[232:233], v[12:13]
	s_waitcnt lgkmcnt(1)
	v_mul_f64 v[248:249], v[242:243], v[16:17]
	v_mul_f64 v[16:17], v[240:241], v[16:17]
	v_fma_f64 v[232:233], v[232:233], v[10:11], -v[30:31]
	v_fma_f64 v[234:235], v[234:235], v[10:11], v[12:13]
	ds_read_b128 v[10:13], v32
	v_fma_f64 v[240:241], v[240:241], v[14:15], -v[248:249]
	v_fma_f64 v[242:243], v[242:243], v[14:15], v[16:17]
	ds_read_b128 v[14:17], v32 offset:2560
	s_waitcnt vmcnt(7) lgkmcnt(1)
	v_mul_f64 v[30:31], v[12:13], v[20:21]
	v_mul_f64 v[20:21], v[10:11], v[20:21]
	s_waitcnt vmcnt(6) lgkmcnt(0)
	v_mul_f64 v[248:249], v[16:17], v[24:25]
	v_mul_f64 v[24:25], v[14:15], v[24:25]
	v_fma_f64 v[10:11], v[10:11], v[18:19], -v[30:31]
	v_fma_f64 v[12:13], v[12:13], v[18:19], v[20:21]
	ds_read_b128 v[18:21], v32 offset:5120
	v_fma_f64 v[14:15], v[14:15], v[22:23], -v[248:249]
	v_fma_f64 v[16:17], v[16:17], v[22:23], v[24:25]
	ds_read_b128 v[22:25], v32 offset:7680
	s_waitcnt vmcnt(5) lgkmcnt(1)
	v_mul_f64 v[30:31], v[20:21], v[28:29]
	v_mul_f64 v[28:29], v[18:19], v[28:29]
	s_waitcnt vmcnt(4) lgkmcnt(0)
	v_mul_f64 v[248:249], v[24:25], v[214:215]
	v_fma_f64 v[18:19], v[18:19], v[26:27], -v[30:31]
	v_fma_f64 v[20:21], v[20:21], v[26:27], v[28:29]
	v_mul_f64 v[26:27], v[22:23], v[214:215]
	s_waitcnt vmcnt(3)
	v_mul_f64 v[30:31], v[238:239], v[218:219]
	v_mul_f64 v[218:219], v[236:237], v[218:219]
	v_fma_f64 v[22:23], v[22:23], v[212:213], -v[248:249]
	v_fma_f64 v[24:25], v[24:25], v[212:213], v[26:27]
	ds_read_b128 v[26:29], v32 offset:15360
	ds_read_b128 v[212:215], v32 offset:17920
	v_fma_f64 v[236:237], v[236:237], v[216:217], -v[30:31]
	v_fma_f64 v[238:239], v[238:239], v[216:217], v[218:219]
	s_waitcnt vmcnt(2) lgkmcnt(1)
	v_mul_f64 v[30:31], v[26:27], v[222:223]
	v_mul_f64 v[248:249], v[28:29], v[222:223]
	s_waitcnt vmcnt(1) lgkmcnt(0)
	v_mul_f64 v[216:217], v[214:215], v[226:227]
	v_mul_f64 v[218:219], v[212:213], v[226:227]
	s_waitcnt vmcnt(0)
	v_mul_f64 v[222:223], v[246:247], v[230:231]
	v_fma_f64 v[28:29], v[28:29], v[220:221], v[30:31]
	v_mul_f64 v[30:31], v[244:245], v[230:231]
	v_fma_f64 v[26:27], v[26:27], v[220:221], -v[248:249]
	v_fma_f64 v[212:213], v[212:213], v[224:225], -v[216:217]
	v_fma_f64 v[214:215], v[214:215], v[224:225], v[218:219]
	v_fma_f64 v[216:217], v[244:245], v[228:229], -v[222:223]
	v_fma_f64 v[218:219], v[246:247], v[228:229], v[30:31]
	ds_write_b128 v32, v[232:235] offset:10240
	ds_write_b128 v32, v[240:243] offset:20480
	ds_write_b128 v32, v[10:13]
	ds_write_b128 v32, v[14:17] offset:2560
	ds_write_b128 v32, v[18:21] offset:5120
	;; [unrolled: 1-line block ×7, first 2 shown]
	s_and_saveexec_b32 s1, vcc_lo
	s_cbranch_execz .LBB0_13
; %bb.12:
	s_clause 0x4
	global_load_dwordx4 v[10:13], v[0:1], off offset:1600
	global_load_dwordx4 v[14:17], v[8:9], off offset:64
	;; [unrolled: 1-line block ×5, first 2 shown]
	v_add_co_u32 v22, s0, 0x2000, v0
	v_add_co_ci_u32_e64 v23, s0, 0, v1, s0
	v_add_co_u32 v26, s0, 0x2800, v0
	v_add_co_ci_u32_e64 v27, s0, 0, v1, s0
	global_load_dwordx4 v[22:25], v[22:23], off offset:1088
	v_add_co_u32 v30, s0, 0x4800, v0
	v_add_co_ci_u32_e64 v31, s0, 0, v1, s0
	v_add_co_u32 v216, s0, 0x5000, v0
	v_add_co_ci_u32_e64 v217, s0, 0, v1, s0
	;; [unrolled: 2-line block ×3, first 2 shown]
	s_clause 0x3
	global_load_dwordx4 v[26:29], v[26:27], off offset:1600
	global_load_dwordx4 v[212:215], v[30:31], off offset:1088
	;; [unrolled: 1-line block ×4, first 2 shown]
	ds_read_b128 v[224:227], v32 offset:1600
	ds_read_b128 v[228:231], v32 offset:4160
	;; [unrolled: 1-line block ×5, first 2 shown]
	s_waitcnt vmcnt(9) lgkmcnt(4)
	v_mul_f64 v[0:1], v[226:227], v[12:13]
	v_mul_f64 v[12:13], v[224:225], v[12:13]
	s_waitcnt vmcnt(8) lgkmcnt(3)
	v_mul_f64 v[30:31], v[230:231], v[16:17]
	v_mul_f64 v[16:17], v[228:229], v[16:17]
	;; [unrolled: 3-line block ×3, first 2 shown]
	v_fma_f64 v[8:9], v[224:225], v[10:11], -v[0:1]
	v_fma_f64 v[10:11], v[226:227], v[10:11], v[12:13]
	ds_read_b128 v[224:227], v32 offset:16960
	ds_read_b128 v[244:247], v32 offset:11840
	v_fma_f64 v[12:13], v[228:229], v[14:15], -v[30:31]
	v_fma_f64 v[14:15], v[230:231], v[14:15], v[16:17]
	s_waitcnt vmcnt(6) lgkmcnt(3)
	v_mul_f64 v[0:1], v[238:239], v[20:21]
	v_mul_f64 v[16:17], v[236:237], v[20:21]
	ds_read_b128 v[228:231], v32 offset:19520
	v_fma_f64 v[232:233], v[232:233], v[6:7], -v[248:249]
	s_waitcnt vmcnt(4) lgkmcnt(3)
	v_mul_f64 v[248:249], v[242:243], v[24:25]
	v_fma_f64 v[234:235], v[234:235], v[6:7], v[250:251]
	v_mul_f64 v[24:25], v[240:241], v[24:25]
	s_waitcnt lgkmcnt(2)
	v_mul_f64 v[20:21], v[226:227], v[4:5]
	v_mul_f64 v[30:31], v[224:225], v[4:5]
	v_fma_f64 v[4:5], v[236:237], v[18:19], -v[0:1]
	v_fma_f64 v[6:7], v[238:239], v[18:19], v[16:17]
	ds_read_b128 v[16:19], v32 offset:22080
	ds_read_b128 v[236:239], v32 offset:24640
	v_fma_f64 v[0:1], v[224:225], v[2:3], -v[20:21]
	v_fma_f64 v[2:3], v[226:227], v[2:3], v[30:31]
	s_waitcnt vmcnt(3) lgkmcnt(3)
	v_mul_f64 v[30:31], v[246:247], v[28:29]
	v_mul_f64 v[28:29], v[244:245], v[28:29]
	s_waitcnt vmcnt(2) lgkmcnt(2)
	v_mul_f64 v[224:225], v[230:231], v[214:215]
	v_mul_f64 v[214:215], v[228:229], v[214:215]
	;; [unrolled: 3-line block ×3, first 2 shown]
	v_fma_f64 v[20:21], v[240:241], v[22:23], -v[248:249]
	s_waitcnt vmcnt(0) lgkmcnt(0)
	v_mul_f64 v[240:241], v[238:239], v[222:223]
	v_mul_f64 v[222:223], v[236:237], v[222:223]
	v_fma_f64 v[22:23], v[242:243], v[22:23], v[24:25]
	v_fma_f64 v[24:25], v[244:245], v[26:27], -v[30:31]
	v_fma_f64 v[26:27], v[246:247], v[26:27], v[28:29]
	v_fma_f64 v[28:29], v[228:229], v[212:213], -v[224:225]
	;; [unrolled: 2-line block ×4, first 2 shown]
	v_fma_f64 v[214:215], v[238:239], v[220:221], v[222:223]
	ds_write_b128 v32, v[8:11] offset:1600
	ds_write_b128 v32, v[12:15] offset:4160
	;; [unrolled: 1-line block ×10, first 2 shown]
.LBB0_13:
	s_or_b32 exec_lo, exec_lo, s1
	s_waitcnt lgkmcnt(0)
	s_barrier
	buffer_gl0_inv
	ds_read_b128 v[216:219], v32
	ds_read_b128 v[212:215], v32 offset:2560
	ds_read_b128 v[244:247], v32 offset:5120
	ds_read_b128 v[228:231], v32 offset:7680
	ds_read_b128 v[248:251], v32 offset:10240
	ds_read_b128 v[232:235], v32 offset:12800
	ds_read_b128 v[236:239], v32 offset:15360
	ds_read_b128 v[220:223], v32 offset:17920
	ds_read_b128 v[240:243], v32 offset:20480
	ds_read_b128 v[224:227], v32 offset:23040
	s_and_saveexec_b32 s0, vcc_lo
	s_cbranch_execz .LBB0_15
; %bb.14:
	ds_read_b128 v[172:175], v32 offset:1600
	ds_read_b128 v[176:179], v32 offset:4160
	;; [unrolled: 1-line block ×10, first 2 shown]
.LBB0_15:
	s_or_b32 exec_lo, exec_lo, s0
	s_waitcnt lgkmcnt(7)
	v_add_f64 v[0:1], v[216:217], v[244:245]
	s_waitcnt lgkmcnt(2)
	v_add_f64 v[74:75], v[234:235], v[222:223]
	v_add_f64 v[20:21], v[234:235], -v[230:231]
	s_waitcnt lgkmcnt(0)
	v_add_f64 v[78:79], v[230:231], v[226:227]
	v_add_f64 v[14:15], v[248:249], v[236:237]
	v_add_f64 v[254:255], v[244:245], -v[248:249]
	v_add_f64 v[4:5], v[248:249], -v[244:245]
	v_add_f64 v[18:19], v[250:251], v[238:239]
	v_add_f64 v[2:3], v[248:249], -v[236:237]
	v_add_f64 v[8:9], v[246:247], -v[250:251]
	v_add_f64 v[16:17], v[244:245], v[240:241]
	v_add_f64 v[244:245], v[244:245], -v[240:241]
	v_add_f64 v[30:31], v[246:247], v[242:243]
	v_add_f64 v[72:73], v[232:233], v[220:221]
	;; [unrolled: 1-line block ×3, first 2 shown]
	v_add_f64 v[28:29], v[226:227], -v[222:223]
	s_mov_b32 s12, 0x134454ff
	s_mov_b32 s13, 0xbfee6f0e
	;; [unrolled: 1-line block ×4, first 2 shown]
	v_add_f64 v[26:27], v[224:225], -v[220:221]
	s_mov_b32 s4, 0x4755a5e
	v_add_f64 v[6:7], v[0:1], v[248:249]
	v_add_f64 v[0:1], v[218:219], v[246:247]
	v_add_f64 v[248:249], v[246:247], -v[242:243]
	s_mov_b32 s5, 0xbfe2cf23
	s_mov_b32 s1, 0x3fe2cf23
	;; [unrolled: 1-line block ×7, first 2 shown]
	v_fma_f64 v[16:17], v[16:17], -0.5, v[216:217]
	s_barrier
	buffer_gl0_inv
	s_mov_b32 s19, 0xbfd3c6ef
	s_mov_b32 s18, s14
	;; [unrolled: 1-line block ×4, first 2 shown]
	v_add_f64 v[6:7], v[6:7], v[236:237]
	v_add_f64 v[10:11], v[0:1], v[250:251]
	v_add_f64 v[0:1], v[250:251], -v[238:239]
	v_add_f64 v[250:251], v[250:251], -v[246:247]
	;; [unrolled: 1-line block ×3, first 2 shown]
	v_add_f64 v[35:36], v[6:7], v[240:241]
	v_add_f64 v[6:7], v[212:213], v[228:229]
	;; [unrolled: 1-line block ×3, first 2 shown]
	v_add_f64 v[10:11], v[240:241], -v[236:237]
	v_add_f64 v[236:237], v[236:237], -v[240:241]
	;; [unrolled: 1-line block ×4, first 2 shown]
	v_add_f64 v[22:23], v[6:7], v[232:233]
	v_add_f64 v[6:7], v[214:215], v[230:231]
	v_add_f64 v[38:39], v[12:13], v[242:243]
	v_add_f64 v[12:13], v[230:231], -v[234:235]
	v_add_f64 v[242:243], v[228:229], -v[232:233]
	;; [unrolled: 1-line block ×4, first 2 shown]
	v_add_f64 v[4:5], v[4:5], v[236:237]
	v_add_f64 v[24:25], v[6:7], v[234:235]
	v_add_f64 v[6:7], v[234:235], -v[222:223]
	v_add_f64 v[234:235], v[230:231], -v[226:227]
	v_add_f64 v[230:231], v[22:23], v[220:221]
	v_add_f64 v[22:23], v[220:221], -v[224:225]
	v_fma_f64 v[220:221], v[14:15], -0.5, v[216:217]
	v_fma_f64 v[14:15], v[76:77], -0.5, v[212:213]
	v_add_f64 v[80:81], v[24:25], v[222:223]
	v_add_f64 v[24:25], v[222:223], -v[226:227]
	v_fma_f64 v[222:223], v[18:19], -0.5, v[218:219]
	v_add_f64 v[82:83], v[230:231], v[224:225]
	v_fma_f64 v[224:225], v[72:73], -0.5, v[212:213]
	v_fma_f64 v[230:231], v[30:31], -0.5, v[218:219]
	v_add_f64 v[30:31], v[254:255], v[10:11]
	v_add_f64 v[72:73], v[12:13], v[28:29]
	v_fma_f64 v[18:19], v[78:79], -0.5, v[214:215]
	v_add_f64 v[80:81], v[80:81], v[226:227]
	v_fma_f64 v[226:227], v[74:75], -0.5, v[214:215]
	v_add_f64 v[24:25], v[20:21], v[24:25]
	v_add_f64 v[216:217], v[35:36], v[82:83]
	v_add_f64 v[212:213], v[35:36], -v[82:83]
	v_add_f64 v[35:36], v[8:9], v[246:247]
	v_fma_f64 v[10:11], v[234:235], s[12:13], v[224:225]
	v_fma_f64 v[20:21], v[232:233], s[12:13], v[18:19]
	v_add_f64 v[218:219], v[38:39], v[80:81]
	v_fma_f64 v[8:9], v[228:229], s[2:3], v[226:227]
	v_add_f64 v[214:215], v[38:39], -v[80:81]
	v_add_f64 v[38:39], v[242:243], v[26:27]
	v_fma_f64 v[10:11], v[6:7], s[4:5], v[10:11]
	v_fma_f64 v[20:21], v[228:229], s[0:1], v[20:21]
	ds_write_b128 v33, v[216:219]
	v_fma_f64 v[8:9], v[232:233], s[0:1], v[8:9]
	ds_write_b128 v33, v[212:215] offset:80
	v_fma_f64 v[10:11], v[38:39], s[14:15], v[10:11]
	v_fma_f64 v[20:21], v[24:25], s[14:15], v[20:21]
	;; [unrolled: 1-line block ×3, first 2 shown]
	v_mul_f64 v[76:77], v[20:21], s[12:13]
	v_mul_f64 v[20:21], v[20:21], s[14:15]
	;; [unrolled: 1-line block ×3, first 2 shown]
	v_fma_f64 v[12:13], v[10:11], s[16:17], v[12:13]
	v_mul_f64 v[10:11], v[10:11], s[0:1]
	v_fma_f64 v[28:29], v[8:9], s[16:17], v[10:11]
	v_fma_f64 v[10:11], v[244:245], s[2:3], v[222:223]
	;; [unrolled: 1-line block ×7, first 2 shown]
	v_add_f64 v[10:11], v[74:75], v[28:29]
	v_add_f64 v[28:29], v[74:75], -v[28:29]
	v_add_f64 v[74:75], v[240:241], v[22:23]
	v_fma_f64 v[22:23], v[6:7], s[2:3], v[14:15]
	v_add_f64 v[8:9], v[26:27], v[12:13]
	v_add_f64 v[26:27], v[26:27], -v[12:13]
	v_add_f64 v[12:13], v[250:251], v[238:239]
	v_fma_f64 v[14:15], v[6:7], s[12:13], v[14:15]
	v_fma_f64 v[22:23], v[234:235], s[4:5], v[22:23]
	ds_write_b128 v33, v[8:11] offset:16
	v_add_f64 v[8:9], v[182:183], -v[206:207]
	v_add_f64 v[10:11], v[190:191], -v[198:199]
	v_fma_f64 v[14:15], v[234:235], s[0:1], v[14:15]
	ds_write_b128 v33, v[26:29] offset:96
	v_add_f64 v[28:29], v[180:181], -v[204:205]
	v_fma_f64 v[22:23], v[74:75], s[14:15], v[22:23]
	v_fma_f64 v[14:15], v[74:75], s[14:15], v[14:15]
	;; [unrolled: 1-line block ×16, first 2 shown]
	v_add_f64 v[20:21], v[80:81], v[76:77]
	v_add_f64 v[216:217], v[80:81], -v[76:77]
	v_fma_f64 v[16:17], v[244:245], s[4:5], v[16:17]
	v_add_f64 v[22:23], v[82:83], v[78:79]
	v_add_f64 v[218:219], v[82:83], -v[78:79]
	v_fma_f64 v[76:77], v[12:13], s[14:15], v[16:17]
	v_fma_f64 v[12:13], v[232:233], s[2:3], v[18:19]
	ds_write_b128 v33, v[20:23] offset:32
	v_add_f64 v[22:23], v[188:189], -v[180:181]
	ds_write_b128 v33, v[216:219] offset:112
	v_fma_f64 v[12:13], v[228:229], s[4:5], v[12:13]
	v_fma_f64 v[12:13], v[24:25], s[14:15], v[12:13]
	;; [unrolled: 1-line block ×3, first 2 shown]
	v_mul_f64 v[16:17], v[12:13], s[12:13]
	v_mul_f64 v[12:13], v[12:13], s[18:19]
	v_fma_f64 v[0:1], v[0:1], s[0:1], v[24:25]
	v_fma_f64 v[16:17], v[14:15], s[18:19], v[16:17]
	;; [unrolled: 1-line block ×5, first 2 shown]
	v_add_f64 v[35:36], v[208:209], v[184:185]
	v_add_f64 v[12:13], v[4:5], v[16:17]
	v_add_f64 v[16:17], v[4:5], -v[16:17]
	v_fma_f64 v[4:5], v[228:229], s[12:13], v[226:227]
	v_add_f64 v[14:15], v[76:77], v[18:19]
	v_add_f64 v[18:19], v[76:77], -v[18:19]
	v_fma_f64 v[76:77], v[234:235], s[2:3], v[224:225]
	v_fma_f64 v[35:36], v[35:36], -0.5, v[176:177]
	v_fma_f64 v[4:5], v[232:233], s[4:5], v[4:5]
	ds_write_b128 v33, v[12:15] offset:48
	v_add_f64 v[12:13], v[198:199], v[190:191]
	v_fma_f64 v[6:7], v[6:7], s[0:1], v[76:77]
	v_add_f64 v[14:15], v[206:207], v[182:183]
	ds_write_b128 v33, v[16:19] offset:128
	v_add_f64 v[16:17], v[182:183], -v[190:191]
	v_add_f64 v[18:19], v[206:207], -v[198:199]
	v_fma_f64 v[4:5], v[72:73], s[14:15], v[4:5]
	v_fma_f64 v[12:13], v[12:13], -0.5, v[174:175]
	v_fma_f64 v[0:1], v[38:39], s[14:15], v[6:7]
	v_fma_f64 v[14:15], v[14:15], -0.5, v[174:175]
	v_add_f64 v[38:39], v[194:195], -v[202:203]
	v_add_f64 v[16:17], v[18:19], v[16:17]
	v_add_f64 v[18:19], v[190:191], -v[182:183]
	v_mul_f64 v[2:3], v[4:5], s[4:5]
	v_mul_f64 v[4:5], v[4:5], s[20:21]
	v_fma_f64 v[6:7], v[0:1], s[20:21], v[2:3]
	v_fma_f64 v[4:5], v[0:1], s[0:1], v[4:5]
	v_add_f64 v[0:1], v[24:25], v[6:7]
	v_add_f64 v[2:3], v[30:31], v[4:5]
	v_add_f64 v[220:221], v[24:25], -v[6:7]
	v_add_f64 v[222:223], v[30:31], -v[4:5]
	v_add_f64 v[4:5], v[196:197], v[188:189]
	v_add_f64 v[6:7], v[204:205], v[180:181]
	v_add_f64 v[24:25], v[196:197], -v[204:205]
	ds_write_b128 v33, v[0:3] offset:64
	v_add_f64 v[0:1], v[180:181], -v[188:189]
	v_add_f64 v[2:3], v[204:205], -v[196:197]
	v_fma_f64 v[4:5], v[4:5], -0.5, v[172:173]
	v_fma_f64 v[6:7], v[6:7], -0.5, v[172:173]
	ds_write_b128 v33, v[220:223] offset:144
	v_add_f64 v[2:3], v[2:3], v[0:1]
	v_fma_f64 v[20:21], v[8:9], s[12:13], v[4:5]
	v_fma_f64 v[4:5], v[8:9], s[2:3], v[4:5]
	v_fma_f64 v[26:27], v[10:11], s[2:3], v[6:7]
	v_fma_f64 v[6:7], v[10:11], s[12:13], v[6:7]
	v_add_f64 v[0:1], v[188:189], -v[196:197]
	v_fma_f64 v[20:21], v[10:11], s[4:5], v[20:21]
	v_fma_f64 v[4:5], v[10:11], s[0:1], v[4:5]
	v_add_f64 v[10:11], v[24:25], v[22:23]
	v_fma_f64 v[22:23], v[8:9], s[4:5], v[26:27]
	v_fma_f64 v[8:9], v[8:9], s[0:1], v[6:7]
	;; [unrolled: 1-line block ×4, first 2 shown]
	v_add_f64 v[24:25], v[198:199], -v[206:207]
	v_fma_f64 v[26:27], v[0:1], s[12:13], v[14:15]
	v_fma_f64 v[14:15], v[0:1], s[2:3], v[14:15]
	v_fma_f64 v[30:31], v[0:1], s[0:1], v[6:7]
	v_fma_f64 v[12:13], v[0:1], s[4:5], v[12:13]
	v_add_f64 v[18:19], v[24:25], v[18:19]
	v_fma_f64 v[24:25], v[28:29], s[0:1], v[26:27]
	v_fma_f64 v[26:27], v[28:29], s[4:5], v[14:15]
	v_add_f64 v[0:1], v[184:185], -v[192:193]
	v_add_f64 v[6:7], v[208:209], -v[200:201]
	v_add_f64 v[14:15], v[192:193], v[200:201]
	v_add_f64 v[28:29], v[6:7], v[0:1]
	v_fma_f64 v[0:1], v[14:15], -0.5, v[176:177]
	v_add_f64 v[6:7], v[186:187], -v[210:211]
	v_fma_f64 v[14:15], v[6:7], s[12:13], v[0:1]
	v_fma_f64 v[0:1], v[6:7], s[2:3], v[0:1]
	;; [unrolled: 1-line block ×6, first 2 shown]
	v_add_f64 v[35:36], v[192:193], -v[184:185]
	v_add_f64 v[38:39], v[200:201], -v[208:209]
	v_fma_f64 v[76:77], v[6:7], s[0:1], v[14:15]
	v_fma_f64 v[14:15], v[16:17], s[14:15], v[12:13]
	v_add_f64 v[35:36], v[38:39], v[35:36]
	v_fma_f64 v[38:39], v[6:7], s[4:5], v[0:1]
	v_fma_f64 v[6:7], v[2:3], s[14:15], v[4:5]
	;; [unrolled: 1-line block ×4, first 2 shown]
	v_add_f64 v[16:17], v[194:195], v[202:203]
	v_fma_f64 v[0:1], v[2:3], s[14:15], v[20:21]
	v_fma_f64 v[2:3], v[10:11], s[14:15], v[22:23]
	;; [unrolled: 1-line block ×4, first 2 shown]
	v_add_f64 v[18:19], v[186:187], -v[194:195]
	v_add_f64 v[20:21], v[210:211], -v[202:203]
	;; [unrolled: 1-line block ×3, first 2 shown]
	v_add_f64 v[26:27], v[210:211], v[186:187]
	v_fma_f64 v[24:25], v[28:29], s[14:15], v[72:73]
	v_fma_f64 v[30:31], v[28:29], s[14:15], v[74:75]
	v_add_f64 v[74:75], v[202:203], -v[210:211]
	v_fma_f64 v[28:29], v[35:36], s[14:15], v[38:39]
	v_add_f64 v[38:39], v[192:193], -v[200:201]
	v_fma_f64 v[35:36], v[35:36], s[14:15], v[76:77]
	v_fma_f64 v[16:17], v[16:17], -0.5, v[178:179]
	v_add_f64 v[18:19], v[20:21], v[18:19]
	v_fma_f64 v[26:27], v[26:27], -0.5, v[178:179]
	v_fma_f64 v[20:21], v[22:23], s[2:3], v[16:17]
	v_fma_f64 v[16:17], v[22:23], s[12:13], v[16:17]
	;; [unrolled: 1-line block ×6, first 2 shown]
	v_add_f64 v[38:39], v[194:195], -v[186:187]
	v_fma_f64 v[72:73], v[22:23], s[0:1], v[72:73]
	v_fma_f64 v[22:23], v[22:23], s[4:5], v[26:27]
	;; [unrolled: 1-line block ×3, first 2 shown]
	v_add_f64 v[38:39], v[74:75], v[38:39]
	v_fma_f64 v[26:27], v[38:39], s[14:15], v[72:73]
	v_fma_f64 v[72:73], v[18:19], s[14:15], v[16:17]
	v_fma_f64 v[38:39], v[38:39], s[14:15], v[22:23]
	v_mul_f64 v[16:17], v[20:21], s[4:5]
	v_mul_f64 v[18:19], v[20:21], s[16:17]
	;; [unrolled: 1-line block ×4, first 2 shown]
	v_fma_f64 v[16:17], v[24:25], s[16:17], v[16:17]
	v_fma_f64 v[22:23], v[24:25], s[0:1], v[18:19]
	v_mul_f64 v[24:25], v[38:39], s[18:19]
	v_fma_f64 v[18:19], v[28:29], s[14:15], v[20:21]
	v_mul_f64 v[20:21], v[38:39], s[12:13]
	v_mul_f64 v[38:39], v[72:73], s[4:5]
	;; [unrolled: 1-line block ×3, first 2 shown]
	v_fma_f64 v[26:27], v[28:29], s[2:3], v[26:27]
	v_fma_f64 v[28:29], v[35:36], s[2:3], v[24:25]
	v_add_f64 v[212:213], v[0:1], -v[16:17]
	v_add_f64 v[214:215], v[8:9], -v[22:23]
	;; [unrolled: 1-line block ×3, first 2 shown]
	v_fma_f64 v[20:21], v[35:36], s[18:19], v[20:21]
	v_fma_f64 v[24:25], v[30:31], s[20:21], v[38:39]
	v_fma_f64 v[30:31], v[30:31], s[0:1], v[72:73]
	v_add_f64 v[222:223], v[10:11], -v[26:27]
	v_add_f64 v[218:219], v[12:13], -v[28:29]
	;; [unrolled: 1-line block ×5, first 2 shown]
	s_and_saveexec_b32 s0, vcc_lo
	s_cbranch_execz .LBB0_17
; %bb.16:
	v_add_f64 v[10:11], v[10:11], v[26:27]
	v_add_f64 v[26:27], v[4:5], v[20:21]
	;; [unrolled: 1-line block ×3, first 2 shown]
	buffer_load_dword v16, off, s[24:27], 0 offset:216 ; 4-byte Folded Reload
	v_add_f64 v[35:36], v[182:183], v[174:175]
	v_add_f64 v[38:39], v[180:181], v[172:173]
	;; [unrolled: 1-line block ×23, first 2 shown]
	v_add_f64 v[2:3], v[35:36], -v[72:73]
	v_add_f64 v[0:1], v[38:39], -v[74:75]
	s_waitcnt vmcnt(0)
	v_lshl_add_u32 v16, v16, 4, v37
	ds_write_b128 v16, v[212:215] offset:96
	ds_write_b128 v16, v[220:223] offset:112
	;; [unrolled: 1-line block ×7, first 2 shown]
	ds_write_b128 v16, v[4:7]
	ds_write_b128 v16, v[0:3] offset:80
	ds_write_b128 v16, v[224:227] offset:144
.LBB0_17:
	s_or_b32 exec_lo, exec_lo, s0
	s_waitcnt lgkmcnt(0)
	s_barrier
	buffer_gl0_inv
	ds_read_b128 v[0:3], v32 offset:1600
	ds_read_b128 v[4:7], v32
	s_mov_b32 s0, 0x667f3bcd
	s_mov_b32 s1, 0xbfe6a09e
	;; [unrolled: 1-line block ×12, first 2 shown]
	s_waitcnt lgkmcnt(1)
	v_mul_f64 v[8:9], v[54:55], v[2:3]
	v_mul_f64 v[10:11], v[54:55], v[0:1]
	v_fma_f64 v[28:29], v[52:53], v[0:1], v[8:9]
	v_fma_f64 v[30:31], v[52:53], v[2:3], -v[10:11]
	ds_read_b128 v[0:3], v32 offset:3200
	ds_read_b128 v[8:11], v32 offset:4800
	s_waitcnt lgkmcnt(1)
	v_mul_f64 v[12:13], v[50:51], v[2:3]
	v_fma_f64 v[35:36], v[48:49], v[0:1], v[12:13]
	v_mul_f64 v[0:1], v[50:51], v[0:1]
	v_fma_f64 v[37:38], v[48:49], v[2:3], -v[0:1]
	ds_read_b128 v[0:3], v32 offset:6400
	ds_read_b128 v[12:15], v32 offset:8000
	s_waitcnt lgkmcnt(1)
	v_mul_f64 v[16:17], v[46:47], v[2:3]
	v_fma_f64 v[48:49], v[44:45], v[0:1], v[16:17]
	v_mul_f64 v[0:1], v[46:47], v[0:1]
	v_fma_f64 v[44:45], v[44:45], v[2:3], -v[0:1]
	s_waitcnt lgkmcnt(0)
	v_mul_f64 v[0:1], v[62:63], v[14:15]
	v_fma_f64 v[46:47], v[60:61], v[12:13], v[0:1]
	v_mul_f64 v[0:1], v[62:63], v[12:13]
	v_fma_f64 v[50:51], v[60:61], v[14:15], -v[0:1]
	ds_read_b128 v[0:3], v32 offset:9600
	ds_read_b128 v[12:15], v32 offset:11200
	s_waitcnt lgkmcnt(1)
	v_mul_f64 v[16:17], v[66:67], v[2:3]
	v_fma_f64 v[52:53], v[64:65], v[0:1], v[16:17]
	v_mul_f64 v[0:1], v[66:67], v[0:1]
	v_fma_f64 v[54:55], v[64:65], v[2:3], -v[0:1]
	ds_read_b128 v[0:3], v32 offset:12800
	ds_read_b128 v[16:19], v32 offset:14400
	s_waitcnt lgkmcnt(1)
	v_mul_f64 v[20:21], v[70:71], v[2:3]
	v_fma_f64 v[60:61], v[68:69], v[0:1], v[20:21]
	v_mul_f64 v[0:1], v[70:71], v[0:1]
	v_fma_f64 v[62:63], v[68:69], v[2:3], -v[0:1]
	ds_read_b128 v[0:3], v32 offset:19200
	ds_read_b128 v[20:23], v32 offset:20800
	s_waitcnt lgkmcnt(1)
	v_mul_f64 v[24:25], v[130:131], v[2:3]
	v_add_f64 v[62:63], v[6:7], -v[62:63]
	v_fma_f64 v[64:65], v[128:129], v[0:1], v[24:25]
	v_mul_f64 v[0:1], v[130:131], v[0:1]
	v_fma_f64 v[6:7], v[6:7], 2.0, -v[62:63]
	v_fma_f64 v[66:67], v[128:129], v[2:3], -v[0:1]
	ds_read_b128 v[0:3], v32 offset:22400
	ds_read_b128 v[24:27], v32 offset:24000
	s_waitcnt lgkmcnt(1)
	v_mul_f64 v[68:69], v[134:135], v[2:3]
	v_add_f64 v[66:67], v[44:45], -v[66:67]
	v_fma_f64 v[68:69], v[132:133], v[0:1], v[68:69]
	v_mul_f64 v[0:1], v[134:135], v[0:1]
	v_fma_f64 v[70:71], v[132:133], v[2:3], -v[0:1]
	v_mul_f64 v[0:1], v[118:119], v[18:19]
	v_fma_f64 v[72:73], v[116:117], v[16:17], v[0:1]
	v_mul_f64 v[0:1], v[118:119], v[16:17]
	v_fma_f64 v[16:17], v[116:117], v[18:19], -v[0:1]
	v_mul_f64 v[0:1], v[126:127], v[22:23]
	v_add_f64 v[16:17], v[30:31], -v[16:17]
	v_fma_f64 v[18:19], v[124:125], v[20:21], v[0:1]
	v_mul_f64 v[0:1], v[126:127], v[20:21]
	v_fma_f64 v[30:31], v[30:31], 2.0, -v[16:17]
	v_add_f64 v[18:19], v[46:47], -v[18:19]
	v_fma_f64 v[20:21], v[124:125], v[22:23], -v[0:1]
	v_mul_f64 v[0:1], v[42:43], v[10:11]
	v_fma_f64 v[46:47], v[46:47], 2.0, -v[18:19]
	v_add_f64 v[20:21], v[50:51], -v[20:21]
	v_fma_f64 v[22:23], v[40:41], v[8:9], v[0:1]
	v_mul_f64 v[0:1], v[42:43], v[8:9]
	v_add_f64 v[18:19], v[16:17], -v[18:19]
	v_fma_f64 v[43:44], v[44:45], 2.0, -v[66:67]
	v_fma_f64 v[50:51], v[50:51], 2.0, -v[20:21]
	v_fma_f64 v[8:9], v[40:41], v[10:11], -v[0:1]
	ds_read_b128 v[0:3], v32 offset:17600
	v_add_f64 v[43:44], v[6:7], -v[43:44]
	v_fma_f64 v[16:17], v[16:17], 2.0, -v[18:19]
	v_add_f64 v[50:51], v[30:31], -v[50:51]
	s_waitcnt lgkmcnt(0)
	v_mul_f64 v[10:11], v[114:115], v[2:3]
	v_fma_f64 v[6:7], v[6:7], 2.0, -v[43:44]
	v_fma_f64 v[30:31], v[30:31], 2.0, -v[50:51]
	v_fma_f64 v[10:11], v[112:113], v[0:1], v[10:11]
	v_mul_f64 v[0:1], v[114:115], v[0:1]
	v_add_f64 v[10:11], v[22:23], -v[10:11]
	v_fma_f64 v[39:40], v[112:113], v[2:3], -v[0:1]
	v_mul_f64 v[0:1], v[58:59], v[14:15]
	v_mul_f64 v[2:3], v[122:123], v[26:27]
	v_fma_f64 v[22:23], v[22:23], 2.0, -v[10:11]
	v_add_f64 v[39:40], v[8:9], -v[39:40]
	v_fma_f64 v[41:42], v[56:57], v[12:13], v[0:1]
	v_mul_f64 v[0:1], v[58:59], v[12:13]
	v_add_f64 v[58:59], v[54:55], -v[70:71]
	v_fma_f64 v[8:9], v[8:9], 2.0, -v[39:40]
	v_fma_f64 v[12:13], v[56:57], v[14:15], -v[0:1]
	v_mul_f64 v[0:1], v[122:123], v[24:25]
	v_fma_f64 v[24:25], v[120:121], v[24:25], v[2:3]
	v_fma_f64 v[54:55], v[54:55], 2.0, -v[58:59]
	v_fma_f64 v[14:15], v[120:121], v[26:27], -v[0:1]
	ds_read_b128 v[0:3], v32 offset:16000
	v_add_f64 v[24:25], v[41:42], -v[24:25]
	s_waitcnt lgkmcnt(0)
	s_barrier
	buffer_gl0_inv
	v_mul_f64 v[26:27], v[110:111], v[0:1]
	v_mul_f64 v[56:57], v[110:111], v[2:3]
	v_add_f64 v[14:15], v[12:13], -v[14:15]
	v_fma_f64 v[2:3], v[108:109], v[2:3], -v[26:27]
	v_fma_f64 v[0:1], v[108:109], v[0:1], v[56:57]
	v_add_f64 v[26:27], v[4:5], -v[60:61]
	v_add_f64 v[56:57], v[48:49], -v[64:65]
	;; [unrolled: 1-line block ×4, first 2 shown]
	v_fma_f64 v[12:13], v[12:13], 2.0, -v[14:15]
	v_add_f64 v[68:69], v[39:40], -v[24:25]
	v_fma_f64 v[24:25], v[41:42], 2.0, -v[24:25]
	v_add_f64 v[14:15], v[10:11], v[14:15]
	v_add_f64 v[2:3], v[37:38], -v[2:3]
	v_add_f64 v[0:1], v[35:36], -v[0:1]
	v_fma_f64 v[4:5], v[4:5], 2.0, -v[26:27]
	v_fma_f64 v[48:49], v[48:49], 2.0, -v[56:57]
	;; [unrolled: 1-line block ×3, first 2 shown]
	v_add_f64 v[20:21], v[60:61], v[20:21]
	v_add_f64 v[41:42], v[26:27], v[66:67]
	v_fma_f64 v[52:53], v[52:53], 2.0, -v[64:65]
	v_add_f64 v[56:57], v[62:63], -v[56:57]
	v_add_f64 v[12:13], v[8:9], -v[12:13]
	v_fma_f64 v[10:11], v[10:11], 2.0, -v[14:15]
	v_add_f64 v[24:25], v[22:23], -v[24:25]
	v_fma_f64 v[39:40], v[39:40], 2.0, -v[68:69]
	v_fma_f64 v[37:38], v[37:38], 2.0, -v[2:3]
	v_add_f64 v[58:59], v[0:1], v[58:59]
	v_fma_f64 v[35:36], v[35:36], 2.0, -v[0:1]
	v_add_f64 v[70:71], v[2:3], -v[64:65]
	v_add_f64 v[48:49], v[4:5], -v[48:49]
	;; [unrolled: 1-line block ×3, first 2 shown]
	v_fma_f64 v[64:65], v[68:69], s[2:3], v[18:19]
	v_fma_f64 v[72:73], v[14:15], s[2:3], v[20:21]
	v_fma_f64 v[60:61], v[60:61], 2.0, -v[20:21]
	v_fma_f64 v[26:27], v[26:27], 2.0, -v[41:42]
	v_fma_f64 v[62:63], v[62:63], 2.0, -v[56:57]
	v_fma_f64 v[22:23], v[22:23], 2.0, -v[24:25]
	v_fma_f64 v[8:9], v[8:9], 2.0, -v[12:13]
	v_add_f64 v[54:55], v[37:38], -v[54:55]
	v_fma_f64 v[74:75], v[58:59], s[2:3], v[41:42]
	v_add_f64 v[52:53], v[35:36], -v[52:53]
	v_fma_f64 v[66:67], v[70:71], s[2:3], v[56:57]
	v_fma_f64 v[0:1], v[0:1], 2.0, -v[58:59]
	v_fma_f64 v[2:3], v[2:3], 2.0, -v[70:71]
	v_fma_f64 v[14:15], v[14:15], s[0:1], v[64:65]
	v_add_f64 v[64:65], v[45:46], v[12:13]
	v_fma_f64 v[72:73], v[68:69], s[2:3], v[72:73]
	v_fma_f64 v[68:69], v[10:11], s[0:1], v[60:61]
	v_fma_f64 v[28:29], v[28:29], 2.0, -v[45:46]
	v_fma_f64 v[4:5], v[4:5], 2.0, -v[48:49]
	v_add_f64 v[8:9], v[30:31], -v[8:9]
	v_add_f64 v[76:77], v[48:49], v[54:55]
	v_fma_f64 v[74:75], v[70:71], s[2:3], v[74:75]
	v_add_f64 v[70:71], v[43:44], -v[52:53]
	v_fma_f64 v[66:67], v[58:59], s[0:1], v[66:67]
	v_add_f64 v[58:59], v[50:51], -v[24:25]
	v_fma_f64 v[35:36], v[35:36], 2.0, -v[52:53]
	v_fma_f64 v[37:38], v[37:38], 2.0, -v[54:55]
	;; [unrolled: 1-line block ×3, first 2 shown]
	v_fma_f64 v[45:46], v[0:1], s[0:1], v[26:27]
	v_fma_f64 v[68:69], v[39:40], s[2:3], v[68:69]
	;; [unrolled: 1-line block ×3, first 2 shown]
	v_fma_f64 v[20:21], v[20:21], 2.0, -v[72:73]
	v_fma_f64 v[18:19], v[18:19], 2.0, -v[14:15]
	v_add_f64 v[22:23], v[28:29], -v[22:23]
	v_fma_f64 v[78:79], v[48:49], 2.0, -v[76:77]
	v_fma_f64 v[24:25], v[64:65], s[2:3], v[76:77]
	v_fma_f64 v[80:81], v[43:44], 2.0, -v[70:71]
	v_fma_f64 v[43:44], v[2:3], s[0:1], v[62:63]
	v_fma_f64 v[12:13], v[58:59], s[2:3], v[70:71]
	v_fma_f64 v[54:55], v[50:51], 2.0, -v[58:59]
	v_fma_f64 v[108:109], v[41:42], 2.0, -v[74:75]
	;; [unrolled: 1-line block ×3, first 2 shown]
	v_fma_f64 v[82:83], v[2:3], s[2:3], v[45:46]
	v_fma_f64 v[10:11], v[10:11], s[0:1], v[39:40]
	;; [unrolled: 1-line block ×4, first 2 shown]
	v_add_f64 v[24:25], v[4:5], -v[35:36]
	v_fma_f64 v[112:113], v[0:1], s[0:1], v[43:44]
	v_add_f64 v[35:36], v[6:7], -v[37:38]
	v_fma_f64 v[0:1], v[72:73], s[14:15], v[74:75]
	v_fma_f64 v[50:51], v[64:65], s[0:1], v[12:13]
	;; [unrolled: 1-line block ×5, first 2 shown]
	v_fma_f64 v[64:65], v[60:61], 2.0, -v[68:69]
	v_fma_f64 v[16:17], v[16:17], 2.0, -v[10:11]
	;; [unrolled: 1-line block ×3, first 2 shown]
	v_fma_f64 v[40:41], v[54:55], s[2:3], v[2:3]
	v_fma_f64 v[2:3], v[20:21], s[16:17], v[108:109]
	v_fma_f64 v[26:27], v[4:5], 2.0, -v[24:25]
	v_fma_f64 v[116:117], v[62:63], 2.0, -v[112:113]
	;; [unrolled: 1-line block ×5, first 2 shown]
	v_fma_f64 v[60:61], v[14:15], s[12:13], v[0:1]
	v_fma_f64 v[62:63], v[72:73], s[16:17], v[12:13]
	;; [unrolled: 1-line block ×6, first 2 shown]
	v_add_f64 v[52:53], v[24:25], v[8:9]
	v_add_f64 v[54:55], v[35:36], -v[22:23]
	v_fma_f64 v[44:45], v[18:19], s[14:15], v[2:3]
	v_fma_f64 v[18:19], v[64:65], s[4:5], v[114:115]
	;; [unrolled: 1-line block ×3, first 2 shown]
	v_add_f64 v[0:1], v[26:27], -v[4:5]
	v_add_f64 v[2:3], v[118:119], -v[6:7]
	v_fma_f64 v[56:57], v[10:11], s[14:15], v[12:13]
	v_fma_f64 v[58:59], v[68:69], s[4:5], v[14:15]
	v_fma_f64 v[12:13], v[76:77], 2.0, -v[48:49]
	v_fma_f64 v[14:15], v[70:71], 2.0, -v[50:51]
	;; [unrolled: 1-line block ×7, first 2 shown]
	v_fma_f64 v[4:5], v[16:17], s[12:13], v[18:19]
	v_fma_f64 v[6:7], v[64:65], s[16:17], v[20:21]
	v_fma_f64 v[16:17], v[74:75], 2.0, -v[60:61]
	v_fma_f64 v[18:19], v[66:67], 2.0, -v[62:63]
	;; [unrolled: 1-line block ×9, first 2 shown]
	ds_write_b128 v34, v[52:55] offset:1920
	ds_write_b128 v34, v[48:51] offset:2240
	;; [unrolled: 1-line block ×10, first 2 shown]
	ds_write_b128 v34, v[20:23]
	ds_write_b128 v34, v[24:27] offset:320
	ds_write_b128 v34, v[28:31] offset:480
	;; [unrolled: 1-line block ×5, first 2 shown]
	s_waitcnt lgkmcnt(0)
	s_barrier
	buffer_gl0_inv
	ds_read_b128 v[64:67], v32
	ds_read_b128 v[68:71], v32 offset:2560
	ds_read_b128 v[132:135], v32 offset:5120
	;; [unrolled: 1-line block ×9, first 2 shown]
	s_and_saveexec_b32 s0, vcc_lo
	s_cbranch_execz .LBB0_19
; %bb.18:
	ds_read_b128 v[40:43], v32 offset:1600
	ds_read_b128 v[44:47], v32 offset:4160
	;; [unrolled: 1-line block ×10, first 2 shown]
.LBB0_19:
	s_or_b32 exec_lo, exec_lo, s0
	s_waitcnt lgkmcnt(4)
	v_mul_f64 v[2:3], v[154:155], v[108:109]
	s_waitcnt lgkmcnt(2)
	v_mul_f64 v[4:5], v[162:163], v[112:113]
	v_mul_f64 v[0:1], v[142:143], v[172:173]
	s_waitcnt lgkmcnt(0)
	v_mul_f64 v[6:7], v[170:171], v[116:117]
	v_mul_f64 v[10:11], v[90:91], v[68:69]
	;; [unrolled: 1-line block ×15, first 2 shown]
	s_mov_b32 s2, 0x134454ff
	s_mov_b32 s3, 0xbfee6f0e
	;; [unrolled: 1-line block ×4, first 2 shown]
	v_fma_f64 v[2:3], v[152:153], v[110:111], -v[2:3]
	v_fma_f64 v[4:5], v[160:161], v[114:115], -v[4:5]
	;; [unrolled: 1-line block ×5, first 2 shown]
	v_fma_f64 v[16:17], v[140:141], v[172:173], v[16:17]
	v_fma_f64 v[28:29], v[152:153], v[108:109], v[28:29]
	;; [unrolled: 1-line block ×6, first 2 shown]
	v_fma_f64 v[14:15], v[144:145], v[134:135], -v[14:15]
	v_fma_f64 v[18:19], v[136:137], v[128:129], v[18:19]
	v_fma_f64 v[20:21], v[136:137], v[130:131], -v[20:21]
	v_fma_f64 v[22:23], v[164:165], v[120:121], v[22:23]
	v_fma_f64 v[24:25], v[156:157], v[126:127], -v[24:25]
	v_fma_f64 v[26:27], v[164:165], v[122:123], -v[26:27]
	v_fma_f64 v[30:31], v[156:157], v[124:125], v[30:31]
	s_mov_b32 s4, 0x4755a5e
	s_mov_b32 s5, 0xbfe2cf23
	;; [unrolled: 1-line block ×5, first 2 shown]
	v_add_f64 v[37:38], v[2:3], v[4:5]
	v_add_f64 v[130:131], v[0:1], -v[2:3]
	v_add_f64 v[70:71], v[0:1], v[6:7]
	v_add_f64 v[128:129], v[0:1], -v[6:7]
	v_add_f64 v[132:133], v[6:7], -v[4:5]
	v_add_f64 v[138:139], v[2:3], -v[4:5]
	v_add_f64 v[82:83], v[28:29], v[33:34]
	v_add_f64 v[88:89], v[16:17], v[35:36]
	v_add_f64 v[90:91], v[16:17], -v[35:36]
	v_add_f64 v[108:109], v[28:29], -v[33:34]
	v_add_f64 v[68:69], v[64:65], v[12:13]
	v_add_f64 v[78:79], v[12:13], -v[18:19]
	v_add_f64 v[134:135], v[2:3], -v[0:1]
	v_add_f64 v[72:73], v[18:19], v[22:23]
	v_add_f64 v[126:127], v[14:15], v[24:25]
	v_add_f64 v[118:119], v[20:21], v[26:27]
	v_add_f64 v[80:81], v[30:31], -v[22:23]
	v_add_f64 v[110:111], v[12:13], v[30:31]
	v_add_f64 v[136:137], v[4:5], -v[6:7]
	v_add_f64 v[116:117], v[66:67], v[14:15]
	v_add_f64 v[0:1], v[10:11], v[0:1]
	v_add_f64 v[74:75], v[14:15], -v[24:25]
	v_fma_f64 v[37:38], v[37:38], -0.5, v[10:11]
	v_add_f64 v[76:77], v[20:21], -v[26:27]
	v_fma_f64 v[70:71], v[70:71], -0.5, v[10:11]
	v_add_f64 v[112:113], v[18:19], -v[12:13]
	v_add_f64 v[114:115], v[22:23], -v[30:31]
	;; [unrolled: 1-line block ×3, first 2 shown]
	v_fma_f64 v[82:83], v[82:83], -0.5, v[8:9]
	v_fma_f64 v[88:89], v[88:89], -0.5, v[8:9]
	v_add_f64 v[8:9], v[8:9], v[16:17]
	v_add_f64 v[120:121], v[18:19], -v[22:23]
	v_add_f64 v[146:147], v[16:17], -v[28:29]
	;; [unrolled: 1-line block ×5, first 2 shown]
	v_fma_f64 v[10:11], v[72:73], -0.5, v[64:65]
	v_add_f64 v[18:19], v[68:69], v[18:19]
	v_add_f64 v[68:69], v[78:79], v[80:81]
	v_fma_f64 v[64:65], v[110:111], -0.5, v[64:65]
	v_fma_f64 v[72:73], v[118:119], -0.5, v[66:67]
	;; [unrolled: 1-line block ×3, first 2 shown]
	v_add_f64 v[78:79], v[130:131], v[132:133]
	v_add_f64 v[80:81], v[134:135], v[136:137]
	v_fma_f64 v[142:143], v[90:91], s[12:13], v[37:38]
	v_fma_f64 v[37:38], v[90:91], s[2:3], v[37:38]
	;; [unrolled: 1-line block ×4, first 2 shown]
	s_mov_b32 s1, 0x3fd3c6ef
	v_add_f64 v[122:123], v[14:15], -v[20:21]
	v_fma_f64 v[110:111], v[128:129], s[2:3], v[82:83]
	v_fma_f64 v[118:119], v[138:139], s[12:13], v[88:89]
	;; [unrolled: 1-line block ×4, first 2 shown]
	v_add_f64 v[14:15], v[20:21], -v[14:15]
	v_add_f64 v[20:21], v[116:117], v[20:21]
	v_add_f64 v[8:9], v[8:9], v[28:29]
	;; [unrolled: 1-line block ×3, first 2 shown]
	v_add_f64 v[124:125], v[24:25], -v[26:27]
	v_add_f64 v[140:141], v[26:27], -v[24:25]
	v_add_f64 v[28:29], v[146:147], v[152:153]
	v_add_f64 v[16:17], v[16:17], v[154:155]
	v_fma_f64 v[2:3], v[74:75], s[2:3], v[10:11]
	v_fma_f64 v[10:11], v[74:75], s[12:13], v[10:11]
	s_mov_b32 s16, 0x9b97f4a8
	s_mov_b32 s17, 0x3fe9e377
	v_fma_f64 v[126:127], v[108:109], s[14:15], v[142:143]
	v_fma_f64 v[37:38], v[108:109], s[4:5], v[37:38]
	;; [unrolled: 1-line block ×4, first 2 shown]
	v_add_f64 v[90:91], v[112:113], v[114:115]
	v_fma_f64 v[108:109], v[76:77], s[12:13], v[64:65]
	v_fma_f64 v[64:65], v[76:77], s[2:3], v[64:65]
	;; [unrolled: 1-line block ×10, first 2 shown]
	v_add_f64 v[18:19], v[18:19], v[22:23]
	v_add_f64 v[20:21], v[20:21], v[26:27]
	;; [unrolled: 1-line block ×4, first 2 shown]
	s_mov_b32 s18, s0
	v_add_f64 v[14:15], v[14:15], v[140:141]
	v_fma_f64 v[2:3], v[76:77], s[4:5], v[2:3]
	v_fma_f64 v[118:119], v[78:79], s[0:1], v[126:127]
	;; [unrolled: 1-line block ×5, first 2 shown]
	v_add_f64 v[78:79], v[122:123], v[124:125]
	v_fma_f64 v[4:5], v[76:77], s[14:15], v[10:11]
	v_fma_f64 v[10:11], v[74:75], s[4:5], v[108:109]
	;; [unrolled: 1-line block ×10, first 2 shown]
	s_mov_b32 s20, s16
	v_fma_f64 v[28:29], v[28:29], s[0:1], v[82:83]
	v_add_f64 v[18:19], v[18:19], v[30:31]
	v_add_f64 v[20:21], v[20:21], v[24:25]
	;; [unrolled: 1-line block ×4, first 2 shown]
	v_fma_f64 v[24:25], v[68:69], s[0:1], v[2:3]
	v_mul_f64 v[74:75], v[118:119], s[4:5]
	v_mul_f64 v[88:89], v[118:119], s[16:17]
	;; [unrolled: 1-line block ×8, first 2 shown]
	v_fma_f64 v[26:27], v[78:79], s[0:1], v[26:27]
	v_fma_f64 v[33:34], v[78:79], s[0:1], v[33:34]
	;; [unrolled: 1-line block ×7, first 2 shown]
	v_add_f64 v[0:1], v[18:19], v[8:9]
	v_add_f64 v[2:3], v[20:21], v[6:7]
	v_add_f64 v[4:5], v[18:19], -v[8:9]
	v_fma_f64 v[64:65], v[66:67], s[16:17], v[74:75]
	v_fma_f64 v[66:67], v[66:67], s[14:15], v[88:89]
	;; [unrolled: 1-line block ×8, first 2 shown]
	v_add_f64 v[6:7], v[20:21], -v[6:7]
	v_add_f64 v[8:9], v[24:25], v[64:65]
	v_add_f64 v[10:11], v[26:27], v[66:67]
	;; [unrolled: 1-line block ×8, first 2 shown]
	v_add_f64 v[24:25], v[24:25], -v[64:65]
	v_add_f64 v[26:27], v[26:27], -v[66:67]
	;; [unrolled: 1-line block ×8, first 2 shown]
	ds_write_b128 v32, v[0:3]
	ds_write_b128 v32, v[4:7] offset:12800
	ds_write_b128 v32, v[8:11] offset:2560
	;; [unrolled: 1-line block ×9, first 2 shown]
	s_and_saveexec_b32 s22, vcc_lo
	s_cbranch_execz .LBB0_21
; %bb.20:
	s_clause 0xb
	buffer_load_dword v72, off, s[24:27], 0 offset:252
	buffer_load_dword v73, off, s[24:27], 0 offset:256
	;; [unrolled: 1-line block ×12, first 2 shown]
	v_mul_f64 v[2:3], v[102:103], v[60:61]
	v_mul_f64 v[4:5], v[106:107], v[220:221]
	;; [unrolled: 1-line block ×12, first 2 shown]
	v_fma_f64 v[2:3], v[100:101], v[62:63], -v[2:3]
	v_fma_f64 v[4:5], v[104:105], v[222:223], -v[4:5]
	;; [unrolled: 1-line block ×3, first 2 shown]
	v_fma_f64 v[20:21], v[100:101], v[60:61], v[20:21]
	v_fma_f64 v[22:23], v[148:149], v[224:225], v[22:23]
	;; [unrolled: 1-line block ×3, first 2 shown]
	v_fma_f64 v[8:9], v[84:85], v[54:55], -v[8:9]
	v_fma_f64 v[12:13], v[92:93], v[218:219], -v[12:13]
	;; [unrolled: 1-line block ×3, first 2 shown]
	v_fma_f64 v[16:17], v[84:85], v[52:53], v[16:17]
	v_fma_f64 v[28:29], v[92:93], v[216:217], v[28:29]
	;; [unrolled: 1-line block ×3, first 2 shown]
	v_add_f64 v[37:38], v[2:3], v[4:5]
	v_add_f64 v[88:89], v[4:5], -v[6:7]
	v_add_f64 v[84:85], v[24:25], -v[22:23]
	v_add_f64 v[90:91], v[8:9], v[42:43]
	v_add_f64 v[80:81], v[12:13], v[8:9]
	v_add_f64 v[78:79], v[14:15], -v[12:13]
	v_add_f64 v[96:97], v[28:29], v[16:17]
	v_add_f64 v[60:61], v[16:17], -v[28:29]
	v_add_f64 v[100:101], v[28:29], -v[33:34]
	;; [unrolled: 1-line block ×3, first 2 shown]
	s_waitcnt vmcnt(8)
	v_mul_f64 v[0:1], v[74:75], v[56:57]
	v_mul_f64 v[18:19], v[74:75], v[58:59]
	s_waitcnt vmcnt(0)
	v_mul_f64 v[26:27], v[66:67], v[44:45]
	v_mul_f64 v[10:11], v[70:71], v[48:49]
	;; [unrolled: 1-line block ×4, first 2 shown]
	v_add_f64 v[70:71], v[2:3], -v[4:5]
	v_add_f64 v[74:75], v[6:7], -v[4:5]
	;; [unrolled: 1-line block ×3, first 2 shown]
	v_fma_f64 v[0:1], v[72:73], v[58:59], -v[0:1]
	v_fma_f64 v[18:19], v[72:73], v[56:57], v[18:19]
	v_fma_f64 v[26:27], v[64:65], v[46:47], -v[26:27]
	v_fma_f64 v[10:11], v[68:69], v[50:51], -v[10:11]
	v_fma_f64 v[30:31], v[68:69], v[48:49], v[30:31]
	v_fma_f64 v[35:36], v[64:65], v[44:45], v[35:36]
	v_add_f64 v[50:51], v[20:21], v[24:25]
	v_add_f64 v[56:57], v[20:21], -v[24:25]
	v_add_f64 v[48:49], v[12:13], -v[14:15]
	v_add_f64 v[46:47], v[6:7], v[0:1]
	v_add_f64 v[52:53], v[22:23], v[18:19]
	v_add_f64 v[54:55], v[18:19], -v[22:23]
	v_fma_f64 v[37:38], v[37:38], -0.5, v[26:27]
	v_add_f64 v[58:59], v[14:15], v[10:11]
	v_add_f64 v[68:69], v[0:1], -v[6:7]
	v_add_f64 v[72:73], v[0:1], -v[2:3]
	;; [unrolled: 1-line block ×3, first 2 shown]
	v_fma_f64 v[50:51], v[50:51], -0.5, v[35:36]
	v_add_f64 v[0:1], v[0:1], v[26:27]
	v_add_f64 v[94:95], v[33:34], v[30:31]
	v_add_f64 v[64:65], v[18:19], -v[20:21]
	v_add_f64 v[82:83], v[20:21], -v[18:19]
	;; [unrolled: 1-line block ×4, first 2 shown]
	v_add_f64 v[16:17], v[16:17], v[40:41]
	v_add_f64 v[18:19], v[18:19], v[35:36]
	v_add_f64 v[44:45], v[8:9], -v[10:11]
	v_add_f64 v[62:63], v[30:31], -v[33:34]
	;; [unrolled: 1-line block ×5, first 2 shown]
	v_fma_f64 v[46:47], v[46:47], -0.5, v[26:27]
	v_fma_f64 v[52:53], v[52:53], -0.5, v[35:36]
	v_add_f64 v[10:11], v[10:11], v[90:91]
	v_fma_f64 v[26:27], v[54:55], s[2:3], v[37:38]
	v_fma_f64 v[37:38], v[54:55], s[12:13], v[37:38]
	v_fma_f64 v[35:36], v[58:59], -0.5, v[42:43]
	v_fma_f64 v[42:43], v[80:81], -0.5, v[42:43]
	v_add_f64 v[58:59], v[74:75], v[72:73]
	v_add_f64 v[72:73], v[88:89], v[86:87]
	v_fma_f64 v[74:75], v[68:69], s[12:13], v[50:51]
	v_fma_f64 v[50:51], v[68:69], s[2:3], v[50:51]
	v_add_f64 v[0:1], v[2:3], v[0:1]
	v_add_f64 v[2:3], v[30:31], v[16:17]
	;; [unrolled: 1-line block ×6, first 2 shown]
	v_fma_f64 v[92:93], v[56:57], s[12:13], v[46:47]
	v_fma_f64 v[46:47], v[56:57], s[2:3], v[46:47]
	;; [unrolled: 1-line block ×11, first 2 shown]
	v_add_f64 v[10:11], v[14:15], v[10:11]
	v_add_f64 v[0:1], v[4:5], v[0:1]
	;; [unrolled: 1-line block ×5, first 2 shown]
	v_fma_f64 v[86:87], v[54:55], s[4:5], v[92:93]
	v_fma_f64 v[46:47], v[54:55], s[14:15], v[46:47]
	v_fma_f64 v[54:55], v[94:95], -0.5, v[40:41]
	v_fma_f64 v[39:40], v[96:97], -0.5, v[40:41]
	v_fma_f64 v[41:42], v[70:71], s[14:15], v[74:75]
	v_fma_f64 v[66:67], v[68:69], s[14:15], v[80:81]
	;; [unrolled: 1-line block ×5, first 2 shown]
	v_add_f64 v[74:75], v[106:107], v[104:105]
	v_fma_f64 v[14:15], v[62:63], s[4:5], v[18:19]
	v_fma_f64 v[16:17], v[60:61], s[4:5], v[20:21]
	;; [unrolled: 1-line block ×5, first 2 shown]
	v_add_f64 v[10:11], v[12:13], v[10:11]
	v_add_f64 v[6:7], v[6:7], v[0:1]
	;; [unrolled: 1-line block ×4, first 2 shown]
	v_fma_f64 v[68:69], v[72:73], s[0:1], v[86:87]
	v_fma_f64 v[46:47], v[72:73], s[0:1], v[46:47]
	;; [unrolled: 1-line block ×6, first 2 shown]
	v_add_f64 v[72:73], v[100:101], v[98:99]
	v_fma_f64 v[24:25], v[48:49], s[0:1], v[41:42]
	v_fma_f64 v[30:31], v[64:65], s[0:1], v[66:67]
	;; [unrolled: 1-line block ×3, first 2 shown]
	v_mul_f64 v[52:53], v[37:38], s[16:17]
	v_mul_f64 v[37:38], v[37:38], s[4:5]
	;; [unrolled: 1-line block ×4, first 2 shown]
	v_fma_f64 v[28:29], v[44:45], s[0:1], v[14:15]
	v_fma_f64 v[16:17], v[56:57], s[0:1], v[16:17]
	;; [unrolled: 1-line block ×4, first 2 shown]
	v_add_f64 v[2:3], v[10:11], -v[6:7]
	v_add_f64 v[0:1], v[12:13], -v[4:5]
	v_add_f64 v[6:7], v[10:11], v[6:7]
	v_add_f64 v[4:5], v[12:13], v[4:5]
	v_mul_f64 v[48:49], v[68:69], s[18:19]
	v_mul_f64 v[50:51], v[46:47], s[0:1]
	v_fma_f64 v[58:59], v[102:103], s[14:15], v[58:59]
	v_fma_f64 v[60:61], v[8:9], s[14:15], v[70:71]
	;; [unrolled: 1-line block ×4, first 2 shown]
	v_mul_f64 v[46:47], v[46:47], s[2:3]
	v_mul_f64 v[54:55], v[68:69], s[2:3]
	v_fma_f64 v[41:42], v[24:25], s[14:15], v[41:42]
	v_fma_f64 v[43:44], v[30:31], s[12:13], v[48:49]
	;; [unrolled: 1-line block ×12, first 2 shown]
	v_add_f64 v[10:11], v[28:29], -v[41:42]
	v_add_f64 v[26:27], v[28:29], v[41:42]
	v_add_f64 v[14:15], v[16:17], -v[43:44]
	v_add_f64 v[30:31], v[16:17], v[43:44]
	v_add_f64 v[46:47], v[20:21], v[50:51]
	;; [unrolled: 1-line block ×3, first 2 shown]
	v_add_f64 v[22:23], v[20:21], -v[50:51]
	v_add_f64 v[18:19], v[56:57], -v[48:49]
	v_add_f64 v[44:45], v[60:61], v[35:36]
	v_add_f64 v[20:21], v[60:61], -v[35:36]
	v_add_f64 v[40:41], v[8:9], v[33:34]
	v_add_f64 v[28:29], v[58:59], v[37:38]
	;; [unrolled: 1-line block ×3, first 2 shown]
	v_add_f64 v[16:17], v[8:9], -v[33:34]
	v_add_f64 v[12:13], v[58:59], -v[37:38]
	v_add_f64 v[8:9], v[52:53], -v[54:55]
	ds_write_b128 v32, v[4:7] offset:1600
	ds_write_b128 v32, v[0:3] offset:14400
	;; [unrolled: 1-line block ×10, first 2 shown]
.LBB0_21:
	s_or_b32 exec_lo, exec_lo, s22
	s_waitcnt lgkmcnt(0)
	s_barrier
	buffer_gl0_inv
	ds_read_b128 v[0:3], v32
	s_clause 0x2
	buffer_load_dword v4, off, s[24:27], 0 offset:4
	buffer_load_dword v5, off, s[24:27], 0 offset:8
	buffer_load_dword v66, off, s[24:27], 0
	s_mov_b32 s2, 0x47ae147b
	s_mov_b32 s3, 0x3f447ae1
	s_mul_i32 s1, s9, 0xa0
	s_mul_hi_u32 s4, s8, 0xa0
	s_mul_i32 s0, s8, 0xa0
	s_add_i32 s1, s4, s1
	s_lshl_b64 s[4:5], s[0:1], 4
	s_mul_i32 s1, s9, 0x1400
	s_waitcnt vmcnt(2)
	v_mov_b32_e32 v39, v4
	s_waitcnt vmcnt(1)
	ds_read_b128 v[4:7], v32 offset:2560
	ds_read_b128 v[8:11], v32 offset:5120
	;; [unrolled: 1-line block ×3, first 2 shown]
	s_clause 0x4
	buffer_load_dword v67, off, s[24:27], 0 offset:116
	buffer_load_dword v68, off, s[24:27], 0 offset:120
	buffer_load_dword v69, off, s[24:27], 0 offset:124
	buffer_load_dword v70, off, s[24:27], 0 offset:128
	buffer_load_dword v72, off, s[24:27], 0 offset:36
	ds_read_b128 v[16:19], v32 offset:10240
	ds_read_b128 v[20:23], v32 offset:12800
	;; [unrolled: 1-line block ×6, first 2 shown]
	s_clause 0x13
	buffer_load_dword v89, off, s[24:27], 0 offset:132
	buffer_load_dword v90, off, s[24:27], 0 offset:136
	;; [unrolled: 1-line block ×20, first 2 shown]
	v_mad_u64_u32 v[33:34], null, s10, v39, 0
	s_waitcnt vmcnt(25)
	v_mad_u64_u32 v[35:36], null, s8, v66, 0
	v_mad_u64_u32 v[64:65], null, s11, v39, v[34:35]
	v_mov_b32_e32 v34, v64
	v_lshlrev_b64 v[33:34], 4, v[33:34]
	s_waitcnt vmcnt(21) lgkmcnt(9)
	v_mul_f64 v[37:38], v[69:70], v[2:3]
	v_mul_f64 v[48:49], v[69:70], v[0:1]
	v_add_co_u32 v70, s0, s6, v33
	s_waitcnt vmcnt(16) lgkmcnt(8)
	v_mul_f64 v[52:53], v[91:92], v[6:7]
	v_mul_f64 v[54:55], v[91:92], v[4:5]
	s_waitcnt vmcnt(12) lgkmcnt(7)
	v_mul_f64 v[56:57], v[87:88], v[10:11]
	v_mul_f64 v[58:59], v[87:88], v[8:9]
	;; [unrolled: 3-line block ×3, first 2 shown]
	v_add_co_ci_u32_e64 v71, s0, s7, v34, s0
	s_clause 0x3
	buffer_load_dword v91, off, s[24:27], 0 offset:196
	buffer_load_dword v92, off, s[24:27], 0 offset:200
	;; [unrolled: 1-line block ×4, first 2 shown]
	v_mad_u64_u32 v[50:51], null, s8, v72, 0
	v_fma_f64 v[0:1], v[67:68], v[0:1], v[37:38]
	v_fma_f64 v[2:3], v[67:68], v[2:3], -v[48:49]
	v_mad_u64_u32 v[65:66], null, s9, v66, v[36:37]
	s_waitcnt vmcnt(8) lgkmcnt(5)
	v_mul_f64 v[37:38], v[79:80], v[18:19]
	v_mul_f64 v[48:49], v[79:80], v[16:17]
	s_waitcnt vmcnt(4) lgkmcnt(4)
	v_mul_f64 v[66:67], v[75:76], v[20:21]
	v_fma_f64 v[4:5], v[89:90], v[4:5], v[52:53]
	v_fma_f64 v[6:7], v[89:90], v[6:7], -v[54:55]
	v_fma_f64 v[8:9], v[85:86], v[8:9], v[56:57]
	v_mov_b32_e32 v36, v65
	v_mul_f64 v[64:65], v[75:76], v[22:23]
	v_fma_f64 v[10:11], v[85:86], v[10:11], -v[58:59]
	v_fma_f64 v[12:13], v[81:82], v[12:13], v[60:61]
	v_fma_f64 v[14:15], v[81:82], v[14:15], -v[62:63]
	v_lshlrev_b64 v[35:36], 4, v[35:36]
	v_add_co_u32 v33, s0, v70, v35
	v_mul_f64 v[0:1], v[0:1], s[2:3]
	v_mul_f64 v[2:3], v[2:3], s[2:3]
	v_add_co_ci_u32_e64 v34, s0, v71, v36, s0
	v_fma_f64 v[16:17], v[77:78], v[16:17], v[37:38]
	v_fma_f64 v[18:19], v[77:78], v[18:19], -v[48:49]
	v_fma_f64 v[22:23], v[73:74], v[22:23], -v[66:67]
	v_mul_f64 v[4:5], v[4:5], s[2:3]
	v_mul_f64 v[6:7], v[6:7], s[2:3]
	;; [unrolled: 1-line block ×3, first 2 shown]
	v_fma_f64 v[20:21], v[73:74], v[20:21], v[64:65]
	v_mul_f64 v[10:11], v[10:11], s[2:3]
	v_mul_f64 v[12:13], v[12:13], s[2:3]
	;; [unrolled: 1-line block ×3, first 2 shown]
	v_add_co_u32 v52, s0, v33, s4
	v_add_co_ci_u32_e64 v53, s0, s5, v34, s0
	v_add_co_u32 v37, s0, v52, s4
	v_add_co_ci_u32_e64 v38, s0, s5, v53, s0
	global_store_dwordx4 v[33:34], v[0:3], off
	s_clause 0xb
	buffer_load_dword v79, off, s[24:27], 0 offset:180
	buffer_load_dword v80, off, s[24:27], 0 offset:184
	;; [unrolled: 1-line block ×12, first 2 shown]
	v_add_co_u32 v62, s0, v37, s4
	v_add_co_ci_u32_e64 v63, s0, s5, v38, s0
	global_store_dwordx4 v[52:53], v[4:7], off
	global_store_dwordx4 v[37:38], v[8:11], off
	;; [unrolled: 1-line block ×3, first 2 shown]
	v_mul_f64 v[6:7], v[20:21], s[2:3]
	buffer_load_dword v21, off, s[24:27], 0 offset:48 ; 4-byte Folded Reload
	v_mov_b32_e32 v0, v51
	v_mul_f64 v[2:3], v[16:17], s[2:3]
	v_mul_f64 v[4:5], v[18:19], s[2:3]
	v_mul_f64 v[8:9], v[22:23], s[2:3]
	v_mad_u64_u32 v[0:1], null, s9, v72, v[0:1]
	v_mov_b32_e32 v51, v0
	v_lshlrev_b64 v[37:38], 4, v[50:51]
	s_waitcnt vmcnt(13) lgkmcnt(3)
	v_mul_f64 v[35:36], v[93:94], v[24:25]
	v_mul_f64 v[68:69], v[93:94], v[26:27]
	v_fma_f64 v[26:27], v[91:92], v[26:27], -v[35:36]
	v_fma_f64 v[24:25], v[91:92], v[24:25], v[68:69]
	v_mul_f64 v[12:13], v[26:27], s[2:3]
	v_mul_f64 v[10:11], v[24:25], s[2:3]
	s_waitcnt vmcnt(9) lgkmcnt(2)
	v_mul_f64 v[33:34], v[81:82], v[30:31]
	v_mul_f64 v[48:49], v[81:82], v[28:29]
	s_waitcnt vmcnt(5) lgkmcnt(1)
	;; [unrolled: 3-line block ×3, first 2 shown]
	v_mul_f64 v[58:59], v[66:67], v[46:47]
	v_mul_f64 v[60:61], v[66:67], v[44:45]
	v_fma_f64 v[0:1], v[79:80], v[28:29], v[33:34]
	v_fma_f64 v[16:17], v[79:80], v[30:31], -v[48:49]
	v_fma_f64 v[18:19], v[75:76], v[40:41], v[54:55]
	v_fma_f64 v[30:31], v[75:76], v[42:43], -v[56:57]
	;; [unrolled: 2-line block ×3, first 2 shown]
	s_waitcnt vmcnt(0)
	v_mad_u64_u32 v[39:40], null, s8, v21, 0
	v_mad_u64_u32 v[28:29], null, 0x1400, s8, v[62:63]
	v_mov_b32_e32 v20, v40
	v_add_nc_u32_e32 v29, s1, v29
	v_add_co_u32 v26, s0, v28, s4
	v_add_co_ci_u32_e64 v27, s0, s5, v29, s0
	v_mul_f64 v[14:15], v[0:1], s[2:3]
	v_mad_u64_u32 v[0:1], null, s9, v21, v[20:21]
	v_mul_f64 v[16:17], v[16:17], s[2:3]
	v_mul_f64 v[18:19], v[18:19], s[2:3]
	;; [unrolled: 1-line block ×3, first 2 shown]
	v_add_co_u32 v30, s0, v26, s4
	v_mul_f64 v[22:23], v[33:34], s[2:3]
	v_mul_f64 v[24:25], v[35:36], s[2:3]
	v_add_co_ci_u32_e64 v31, s0, s5, v27, s0
	v_mov_b32_e32 v40, v0
	v_add_co_u32 v33, s0, v70, v37
	v_mad_u64_u32 v[0:1], null, 0x1400, s8, v[30:31]
	v_lshlrev_b64 v[35:36], 4, v[39:40]
	v_add_co_ci_u32_e64 v34, s0, v71, v38, s0
	global_store_dwordx4 v[33:34], v[2:5], off
	global_store_dwordx4 v[28:29], v[6:9], off
	v_add_co_u32 v2, s0, v70, v35
	v_add_nc_u32_e32 v1, s1, v1
	v_add_co_ci_u32_e64 v3, s0, v71, v36, s0
	global_store_dwordx4 v[26:27], v[10:13], off
	global_store_dwordx4 v[30:31], v[14:17], off
	;; [unrolled: 1-line block ×4, first 2 shown]
	s_and_b32 exec_lo, exec_lo, vcc_lo
	s_cbranch_execz .LBB0_23
; %bb.22:
	global_load_dwordx4 v[2:5], v[252:253], off offset:1600
	ds_read_b128 v[6:9], v32 offset:1600
	ds_read_b128 v[10:13], v32 offset:4160
	s_mul_i32 s0, s9, 0xffffac40
	s_sub_i32 s0, s0, s8
	s_waitcnt vmcnt(0) lgkmcnt(1)
	v_mul_f64 v[14:15], v[8:9], v[4:5]
	v_mul_f64 v[4:5], v[6:7], v[4:5]
	v_fma_f64 v[6:7], v[6:7], v[2:3], v[14:15]
	v_fma_f64 v[4:5], v[2:3], v[8:9], -v[4:5]
	v_mul_f64 v[2:3], v[6:7], s[2:3]
	v_mul_f64 v[4:5], v[4:5], s[2:3]
	v_mad_u64_u32 v[6:7], null, 0xffffac40, s8, v[0:1]
	v_add_nc_u32_e32 v7, s0, v7
	global_store_dwordx4 v[6:7], v[2:5], off
	s_clause 0x1
	buffer_load_dword v0, off, s[24:27], 0 offset:40
	buffer_load_dword v1, off, s[24:27], 0 offset:44
	s_waitcnt vmcnt(0)
	global_load_dwordx4 v[0:3], v[0:1], off offset:64
	s_waitcnt vmcnt(0) lgkmcnt(0)
	v_mul_f64 v[4:5], v[12:13], v[2:3]
	v_mul_f64 v[2:3], v[10:11], v[2:3]
	v_fma_f64 v[4:5], v[10:11], v[0:1], v[4:5]
	v_fma_f64 v[2:3], v[0:1], v[12:13], -v[2:3]
	v_add_co_u32 v12, vcc_lo, v6, s4
	v_add_co_ci_u32_e32 v13, vcc_lo, s5, v7, vcc_lo
	v_mul_f64 v[0:1], v[4:5], s[2:3]
	v_mul_f64 v[2:3], v[2:3], s[2:3]
	global_store_dwordx4 v[12:13], v[0:3], off
	s_clause 0x1
	buffer_load_dword v0, off, s[24:27], 0 offset:28
	buffer_load_dword v1, off, s[24:27], 0 offset:32
	s_waitcnt vmcnt(0)
	global_load_dwordx4 v[0:3], v[0:1], off offset:576
	ds_read_b128 v[4:7], v32 offset:6720
	ds_read_b128 v[8:11], v32 offset:9280
	s_waitcnt vmcnt(0) lgkmcnt(1)
	v_mul_f64 v[14:15], v[6:7], v[2:3]
	v_mul_f64 v[2:3], v[4:5], v[2:3]
	v_fma_f64 v[4:5], v[4:5], v[0:1], v[14:15]
	v_fma_f64 v[2:3], v[0:1], v[6:7], -v[2:3]
	v_mul_f64 v[0:1], v[4:5], s[2:3]
	v_mul_f64 v[2:3], v[2:3], s[2:3]
	v_add_co_u32 v4, vcc_lo, v12, s4
	v_add_co_ci_u32_e32 v5, vcc_lo, s5, v13, vcc_lo
	v_add_co_u32 v6, vcc_lo, 0x2000, v252
	v_add_co_ci_u32_e32 v7, vcc_lo, 0, v253, vcc_lo
	;; [unrolled: 2-line block ×3, first 2 shown]
	global_store_dwordx4 v[4:5], v[0:3], off
	global_load_dwordx4 v[0:3], v[6:7], off offset:1088
	v_add_co_u32 v4, vcc_lo, 0x2800, v252
	v_add_co_ci_u32_e32 v5, vcc_lo, 0, v253, vcc_lo
	s_waitcnt vmcnt(0) lgkmcnt(0)
	v_mul_f64 v[6:7], v[10:11], v[2:3]
	v_mul_f64 v[2:3], v[8:9], v[2:3]
	v_fma_f64 v[6:7], v[8:9], v[0:1], v[6:7]
	v_fma_f64 v[2:3], v[0:1], v[10:11], -v[2:3]
	v_mul_f64 v[0:1], v[6:7], s[2:3]
	v_mul_f64 v[2:3], v[2:3], s[2:3]
	global_store_dwordx4 v[12:13], v[0:3], off
	global_load_dwordx4 v[0:3], v[4:5], off offset:1600
	ds_read_b128 v[4:7], v32 offset:11840
	ds_read_b128 v[8:11], v32 offset:14400
	s_waitcnt vmcnt(0) lgkmcnt(1)
	v_mul_f64 v[14:15], v[6:7], v[2:3]
	v_mul_f64 v[2:3], v[4:5], v[2:3]
	v_fma_f64 v[4:5], v[4:5], v[0:1], v[14:15]
	v_fma_f64 v[2:3], v[0:1], v[6:7], -v[2:3]
	v_mul_f64 v[0:1], v[4:5], s[2:3]
	v_mul_f64 v[2:3], v[2:3], s[2:3]
	v_add_co_u32 v4, vcc_lo, v12, s4
	v_add_co_ci_u32_e32 v5, vcc_lo, s5, v13, vcc_lo
	v_add_co_u32 v12, vcc_lo, v4, s4
	v_add_co_ci_u32_e32 v13, vcc_lo, s5, v5, vcc_lo
	global_store_dwordx4 v[4:5], v[0:3], off
	s_clause 0x1
	buffer_load_dword v0, off, s[24:27], 0 offset:20
	buffer_load_dword v1, off, s[24:27], 0 offset:24
	s_waitcnt vmcnt(0)
	global_load_dwordx4 v[0:3], v[0:1], off offset:64
	s_waitcnt vmcnt(0) lgkmcnt(0)
	v_mul_f64 v[6:7], v[10:11], v[2:3]
	v_mul_f64 v[2:3], v[8:9], v[2:3]
	v_fma_f64 v[6:7], v[8:9], v[0:1], v[6:7]
	v_fma_f64 v[2:3], v[0:1], v[10:11], -v[2:3]
	v_mul_f64 v[0:1], v[6:7], s[2:3]
	v_mul_f64 v[2:3], v[2:3], s[2:3]
	global_store_dwordx4 v[12:13], v[0:3], off
	s_clause 0x1
	buffer_load_dword v0, off, s[24:27], 0 offset:12
	buffer_load_dword v1, off, s[24:27], 0 offset:16
	s_waitcnt vmcnt(0)
	global_load_dwordx4 v[0:3], v[0:1], off offset:576
	ds_read_b128 v[4:7], v32 offset:16960
	ds_read_b128 v[8:11], v32 offset:19520
	s_waitcnt vmcnt(0) lgkmcnt(1)
	v_mul_f64 v[14:15], v[6:7], v[2:3]
	v_mul_f64 v[2:3], v[4:5], v[2:3]
	v_fma_f64 v[4:5], v[4:5], v[0:1], v[14:15]
	v_fma_f64 v[2:3], v[0:1], v[6:7], -v[2:3]
	v_mul_f64 v[0:1], v[4:5], s[2:3]
	v_mul_f64 v[2:3], v[2:3], s[2:3]
	v_add_co_u32 v4, vcc_lo, v12, s4
	v_add_co_ci_u32_e32 v5, vcc_lo, s5, v13, vcc_lo
	v_add_co_u32 v6, vcc_lo, 0x4800, v252
	v_add_co_ci_u32_e32 v7, vcc_lo, 0, v253, vcc_lo
	;; [unrolled: 2-line block ×3, first 2 shown]
	global_store_dwordx4 v[4:5], v[0:3], off
	global_load_dwordx4 v[0:3], v[6:7], off offset:1088
	v_add_co_u32 v4, vcc_lo, 0x5000, v252
	v_add_co_ci_u32_e32 v5, vcc_lo, 0, v253, vcc_lo
	s_waitcnt vmcnt(0) lgkmcnt(0)
	v_mul_f64 v[6:7], v[10:11], v[2:3]
	v_mul_f64 v[2:3], v[8:9], v[2:3]
	v_fma_f64 v[6:7], v[8:9], v[0:1], v[6:7]
	v_fma_f64 v[2:3], v[0:1], v[10:11], -v[2:3]
	v_mul_f64 v[0:1], v[6:7], s[2:3]
	v_mul_f64 v[2:3], v[2:3], s[2:3]
	global_store_dwordx4 v[12:13], v[0:3], off
	global_load_dwordx4 v[0:3], v[4:5], off offset:1600
	ds_read_b128 v[4:7], v32 offset:22080
	ds_read_b128 v[8:11], v32 offset:24640
	s_waitcnt vmcnt(0) lgkmcnt(1)
	v_mul_f64 v[14:15], v[6:7], v[2:3]
	v_mul_f64 v[2:3], v[4:5], v[2:3]
	v_fma_f64 v[4:5], v[4:5], v[0:1], v[14:15]
	v_fma_f64 v[2:3], v[0:1], v[6:7], -v[2:3]
	v_mul_f64 v[0:1], v[4:5], s[2:3]
	v_mul_f64 v[2:3], v[2:3], s[2:3]
	v_add_co_u32 v4, vcc_lo, v12, s4
	v_add_co_ci_u32_e32 v5, vcc_lo, s5, v13, vcc_lo
	v_add_co_u32 v6, vcc_lo, 0x6000, v252
	v_add_co_ci_u32_e32 v7, vcc_lo, 0, v253, vcc_lo
	global_store_dwordx4 v[4:5], v[0:3], off
	global_load_dwordx4 v[0:3], v[6:7], off offset:64
	v_add_co_u32 v4, vcc_lo, v4, s4
	v_add_co_ci_u32_e32 v5, vcc_lo, s5, v5, vcc_lo
	s_waitcnt vmcnt(0) lgkmcnt(0)
	v_mul_f64 v[6:7], v[10:11], v[2:3]
	v_mul_f64 v[2:3], v[8:9], v[2:3]
	v_fma_f64 v[6:7], v[8:9], v[0:1], v[6:7]
	v_fma_f64 v[2:3], v[0:1], v[10:11], -v[2:3]
	v_mul_f64 v[0:1], v[6:7], s[2:3]
	v_mul_f64 v[2:3], v[2:3], s[2:3]
	global_store_dwordx4 v[4:5], v[0:3], off
.LBB0_23:
	s_endpgm
	.section	.rodata,"a",@progbits
	.p2align	6, 0x0
	.amdhsa_kernel bluestein_single_back_len1600_dim1_dp_op_CI_CI
		.amdhsa_group_segment_fixed_size 51200
		.amdhsa_private_segment_fixed_size 272
		.amdhsa_kernarg_size 104
		.amdhsa_user_sgpr_count 6
		.amdhsa_user_sgpr_private_segment_buffer 1
		.amdhsa_user_sgpr_dispatch_ptr 0
		.amdhsa_user_sgpr_queue_ptr 0
		.amdhsa_user_sgpr_kernarg_segment_ptr 1
		.amdhsa_user_sgpr_dispatch_id 0
		.amdhsa_user_sgpr_flat_scratch_init 0
		.amdhsa_user_sgpr_private_segment_size 0
		.amdhsa_wavefront_size32 1
		.amdhsa_uses_dynamic_stack 0
		.amdhsa_system_sgpr_private_segment_wavefront_offset 1
		.amdhsa_system_sgpr_workgroup_id_x 1
		.amdhsa_system_sgpr_workgroup_id_y 0
		.amdhsa_system_sgpr_workgroup_id_z 0
		.amdhsa_system_sgpr_workgroup_info 0
		.amdhsa_system_vgpr_workitem_id 0
		.amdhsa_next_free_vgpr 256
		.amdhsa_next_free_sgpr 28
		.amdhsa_reserve_vcc 1
		.amdhsa_reserve_flat_scratch 0
		.amdhsa_float_round_mode_32 0
		.amdhsa_float_round_mode_16_64 0
		.amdhsa_float_denorm_mode_32 3
		.amdhsa_float_denorm_mode_16_64 3
		.amdhsa_dx10_clamp 1
		.amdhsa_ieee_mode 1
		.amdhsa_fp16_overflow 0
		.amdhsa_workgroup_processor_mode 1
		.amdhsa_memory_ordered 1
		.amdhsa_forward_progress 0
		.amdhsa_shared_vgpr_count 0
		.amdhsa_exception_fp_ieee_invalid_op 0
		.amdhsa_exception_fp_denorm_src 0
		.amdhsa_exception_fp_ieee_div_zero 0
		.amdhsa_exception_fp_ieee_overflow 0
		.amdhsa_exception_fp_ieee_underflow 0
		.amdhsa_exception_fp_ieee_inexact 0
		.amdhsa_exception_int_div_zero 0
	.end_amdhsa_kernel
	.text
.Lfunc_end0:
	.size	bluestein_single_back_len1600_dim1_dp_op_CI_CI, .Lfunc_end0-bluestein_single_back_len1600_dim1_dp_op_CI_CI
                                        ; -- End function
	.section	.AMDGPU.csdata,"",@progbits
; Kernel info:
; codeLenInByte = 24356
; NumSgprs: 30
; NumVgprs: 256
; ScratchSize: 272
; MemoryBound: 0
; FloatMode: 240
; IeeeMode: 1
; LDSByteSize: 51200 bytes/workgroup (compile time only)
; SGPRBlocks: 3
; VGPRBlocks: 31
; NumSGPRsForWavesPerEU: 30
; NumVGPRsForWavesPerEU: 256
; Occupancy: 4
; WaveLimiterHint : 1
; COMPUTE_PGM_RSRC2:SCRATCH_EN: 1
; COMPUTE_PGM_RSRC2:USER_SGPR: 6
; COMPUTE_PGM_RSRC2:TRAP_HANDLER: 0
; COMPUTE_PGM_RSRC2:TGID_X_EN: 1
; COMPUTE_PGM_RSRC2:TGID_Y_EN: 0
; COMPUTE_PGM_RSRC2:TGID_Z_EN: 0
; COMPUTE_PGM_RSRC2:TIDIG_COMP_CNT: 0
	.text
	.p2alignl 6, 3214868480
	.fill 48, 4, 3214868480
	.type	__hip_cuid_17997d9875d0e6c7,@object ; @__hip_cuid_17997d9875d0e6c7
	.section	.bss,"aw",@nobits
	.globl	__hip_cuid_17997d9875d0e6c7
__hip_cuid_17997d9875d0e6c7:
	.byte	0                               ; 0x0
	.size	__hip_cuid_17997d9875d0e6c7, 1

	.ident	"AMD clang version 19.0.0git (https://github.com/RadeonOpenCompute/llvm-project roc-6.4.0 25133 c7fe45cf4b819c5991fe208aaa96edf142730f1d)"
	.section	".note.GNU-stack","",@progbits
	.addrsig
	.addrsig_sym __hip_cuid_17997d9875d0e6c7
	.amdgpu_metadata
---
amdhsa.kernels:
  - .args:
      - .actual_access:  read_only
        .address_space:  global
        .offset:         0
        .size:           8
        .value_kind:     global_buffer
      - .actual_access:  read_only
        .address_space:  global
        .offset:         8
        .size:           8
        .value_kind:     global_buffer
      - .actual_access:  read_only
        .address_space:  global
        .offset:         16
        .size:           8
        .value_kind:     global_buffer
      - .actual_access:  read_only
        .address_space:  global
        .offset:         24
        .size:           8
        .value_kind:     global_buffer
      - .actual_access:  read_only
        .address_space:  global
        .offset:         32
        .size:           8
        .value_kind:     global_buffer
      - .offset:         40
        .size:           8
        .value_kind:     by_value
      - .address_space:  global
        .offset:         48
        .size:           8
        .value_kind:     global_buffer
      - .address_space:  global
        .offset:         56
        .size:           8
        .value_kind:     global_buffer
      - .address_space:  global
        .offset:         64
        .size:           8
        .value_kind:     global_buffer
      - .address_space:  global
        .offset:         72
        .size:           8
        .value_kind:     global_buffer
      - .offset:         80
        .size:           4
        .value_kind:     by_value
      - .address_space:  global
        .offset:         88
        .size:           8
        .value_kind:     global_buffer
      - .address_space:  global
        .offset:         96
        .size:           8
        .value_kind:     global_buffer
    .group_segment_fixed_size: 51200
    .kernarg_segment_align: 8
    .kernarg_segment_size: 104
    .language:       OpenCL C
    .language_version:
      - 2
      - 0
    .max_flat_workgroup_size: 200
    .name:           bluestein_single_back_len1600_dim1_dp_op_CI_CI
    .private_segment_fixed_size: 272
    .sgpr_count:     30
    .sgpr_spill_count: 0
    .symbol:         bluestein_single_back_len1600_dim1_dp_op_CI_CI.kd
    .uniform_work_group_size: 1
    .uses_dynamic_stack: false
    .vgpr_count:     256
    .vgpr_spill_count: 67
    .wavefront_size: 32
    .workgroup_processor_mode: 1
amdhsa.target:   amdgcn-amd-amdhsa--gfx1030
amdhsa.version:
  - 1
  - 2
...

	.end_amdgpu_metadata
